;; amdgpu-corpus repo=ggml-org/llama.cpp kind=compiled arch=gfx1100 opt=O3
	.text
	.amdgcn_target "amdgcn-amd-amdhsa--gfx1100"
	.amdhsa_code_object_version 6
	.section	.text._ZL9cpy_f32_qIXadL_ZL17cpy_blck_f32_q8_0PKcPcEELi32EEvS1_S2_lllllllllllllll,"axG",@progbits,_ZL9cpy_f32_qIXadL_ZL17cpy_blck_f32_q8_0PKcPcEELi32EEvS1_S2_lllllllllllllll,comdat
	.globl	_ZL9cpy_f32_qIXadL_ZL17cpy_blck_f32_q8_0PKcPcEELi32EEvS1_S2_lllllllllllllll ; -- Begin function _ZL9cpy_f32_qIXadL_ZL17cpy_blck_f32_q8_0PKcPcEELi32EEvS1_S2_lllllllllllllll
	.p2align	8
	.type	_ZL9cpy_f32_qIXadL_ZL17cpy_blck_f32_q8_0PKcPcEELi32EEvS1_S2_lllllllllllllll,@function
_ZL9cpy_f32_qIXadL_ZL17cpy_blck_f32_q8_0PKcPcEELi32EEvS1_S2_lllllllllllllll: ; @_ZL9cpy_f32_qIXadL_ZL17cpy_blck_f32_q8_0PKcPcEELi32EEvS1_S2_lllllllllllllll
; %bb.0:
	s_load_b32 s2, s[0:1], 0x94
	v_mov_b32_e32 v2, 0
	s_load_b512 s[16:31], s[0:1], 0x0
	s_delay_alu instid0(VALU_DEP_1)
	v_mov_b32_e32 v1, v2
	s_waitcnt lgkmcnt(0)
	s_and_b32 s2, s2, 0xffff
	s_delay_alu instid0(VALU_DEP_1) | instid1(SALU_CYCLE_1)
	v_mad_u64_u32 v[3:4], null, s2, s15, v[0:1]
	s_mov_b32 s2, exec_lo
	s_delay_alu instid0(VALU_DEP_1) | instskip(NEXT) | instid1(VALU_DEP_1)
	v_lshlrev_b64 v[4:5], 5, v[3:4]
	v_cmpx_gt_i64_e64 s[20:21], v[4:5]
	s_cbranch_execz .LBB0_26
; %bb.1:
	s_mul_i32 s2, s24, s23
	s_mul_hi_u32 s3, s24, s22
                                        ; implicit-def: $vgpr0_vgpr1
	s_delay_alu instid0(SALU_CYCLE_1)
	s_add_i32 s8, s3, s2
	s_mul_i32 s3, s24, s22
	s_mul_i32 s2, s25, s22
	;; [unrolled: 1-line block ×3, first 2 shown]
	s_mul_hi_u32 s5, s3, s26
	s_add_i32 s8, s8, s2
	s_add_i32 s2, s5, s4
	s_mul_i32 s4, s8, s26
	s_mul_i32 s10, s3, s26
	s_add_i32 s9, s2, s4
	s_mov_b32 s2, exec_lo
	v_or_b32_e32 v3, s9, v5
	s_delay_alu instid0(VALU_DEP_1)
	v_cmpx_ne_u64_e32 0, v[2:3]
	s_xor_b32 s11, exec_lo, s2
	s_cbranch_execz .LBB0_3
; %bb.2:
	s_ashr_i32 s4, s9, 31
	s_delay_alu instid0(SALU_CYCLE_1) | instskip(SKIP_2) | instid1(SALU_CYCLE_1)
	s_add_u32 s6, s10, s4
	s_mov_b32 s5, s4
	s_addc_u32 s7, s9, s4
	s_xor_b64 s[6:7], s[6:7], s[4:5]
	s_delay_alu instid0(SALU_CYCLE_1) | instskip(SKIP_3) | instid1(VALU_DEP_1)
	v_cvt_f32_u32_e32 v0, s6
	v_cvt_f32_u32_e32 v1, s7
	s_sub_u32 s2, 0, s6
	s_subb_u32 s5, 0, s7
	v_fmamk_f32 v0, v1, 0x4f800000, v0
	s_delay_alu instid0(VALU_DEP_1) | instskip(SKIP_2) | instid1(VALU_DEP_1)
	v_rcp_f32_e32 v0, v0
	s_waitcnt_depctr 0xfff
	v_mul_f32_e32 v0, 0x5f7ffffc, v0
	v_mul_f32_e32 v1, 0x2f800000, v0
	s_delay_alu instid0(VALU_DEP_1) | instskip(NEXT) | instid1(VALU_DEP_1)
	v_trunc_f32_e32 v1, v1
	v_fmamk_f32 v0, v1, 0xcf800000, v0
	v_cvt_u32_f32_e32 v1, v1
	s_delay_alu instid0(VALU_DEP_2) | instskip(NEXT) | instid1(VALU_DEP_2)
	v_cvt_u32_f32_e32 v0, v0
	v_mul_lo_u32 v2, s2, v1
	s_delay_alu instid0(VALU_DEP_2) | instskip(SKIP_1) | instid1(VALU_DEP_2)
	v_mul_hi_u32 v3, s2, v0
	v_mul_lo_u32 v6, s5, v0
	v_add_nc_u32_e32 v2, v3, v2
	v_mul_lo_u32 v3, s2, v0
	s_delay_alu instid0(VALU_DEP_2) | instskip(NEXT) | instid1(VALU_DEP_2)
	v_add_nc_u32_e32 v2, v2, v6
	v_mul_hi_u32 v6, v0, v3
	s_delay_alu instid0(VALU_DEP_2)
	v_mul_lo_u32 v7, v0, v2
	v_mul_hi_u32 v8, v0, v2
	v_mul_hi_u32 v9, v1, v3
	v_mul_lo_u32 v3, v1, v3
	v_mul_hi_u32 v10, v1, v2
	v_mul_lo_u32 v2, v1, v2
	v_add_co_u32 v6, vcc_lo, v6, v7
	v_add_co_ci_u32_e32 v7, vcc_lo, 0, v8, vcc_lo
	s_delay_alu instid0(VALU_DEP_2) | instskip(NEXT) | instid1(VALU_DEP_2)
	v_add_co_u32 v3, vcc_lo, v6, v3
	v_add_co_ci_u32_e32 v3, vcc_lo, v7, v9, vcc_lo
	v_add_co_ci_u32_e32 v6, vcc_lo, 0, v10, vcc_lo
	s_delay_alu instid0(VALU_DEP_2) | instskip(NEXT) | instid1(VALU_DEP_2)
	v_add_co_u32 v2, vcc_lo, v3, v2
	v_add_co_ci_u32_e32 v3, vcc_lo, 0, v6, vcc_lo
	s_delay_alu instid0(VALU_DEP_2) | instskip(NEXT) | instid1(VALU_DEP_2)
	v_add_co_u32 v0, vcc_lo, v0, v2
	v_add_co_ci_u32_e32 v1, vcc_lo, v1, v3, vcc_lo
	s_delay_alu instid0(VALU_DEP_2) | instskip(SKIP_1) | instid1(VALU_DEP_3)
	v_mul_hi_u32 v2, s2, v0
	v_mul_lo_u32 v6, s5, v0
	v_mul_lo_u32 v3, s2, v1
	s_delay_alu instid0(VALU_DEP_1) | instskip(SKIP_1) | instid1(VALU_DEP_2)
	v_add_nc_u32_e32 v2, v2, v3
	v_mul_lo_u32 v3, s2, v0
	v_add_nc_u32_e32 v2, v2, v6
	s_delay_alu instid0(VALU_DEP_2) | instskip(NEXT) | instid1(VALU_DEP_2)
	v_mul_hi_u32 v6, v0, v3
	v_mul_lo_u32 v7, v0, v2
	v_mul_hi_u32 v8, v0, v2
	v_mul_hi_u32 v9, v1, v3
	v_mul_lo_u32 v3, v1, v3
	v_mul_hi_u32 v10, v1, v2
	v_mul_lo_u32 v2, v1, v2
	v_add_co_u32 v6, vcc_lo, v6, v7
	v_add_co_ci_u32_e32 v7, vcc_lo, 0, v8, vcc_lo
	s_delay_alu instid0(VALU_DEP_2) | instskip(NEXT) | instid1(VALU_DEP_2)
	v_add_co_u32 v3, vcc_lo, v6, v3
	v_add_co_ci_u32_e32 v3, vcc_lo, v7, v9, vcc_lo
	v_add_co_ci_u32_e32 v6, vcc_lo, 0, v10, vcc_lo
	s_delay_alu instid0(VALU_DEP_2) | instskip(NEXT) | instid1(VALU_DEP_2)
	v_add_co_u32 v2, vcc_lo, v3, v2
	v_add_co_ci_u32_e32 v3, vcc_lo, 0, v6, vcc_lo
	s_delay_alu instid0(VALU_DEP_2) | instskip(NEXT) | instid1(VALU_DEP_2)
	v_add_co_u32 v6, vcc_lo, v0, v2
	v_add_co_ci_u32_e32 v8, vcc_lo, v1, v3, vcc_lo
	s_delay_alu instid0(VALU_DEP_2) | instskip(SKIP_1) | instid1(VALU_DEP_3)
	v_mul_hi_u32 v9, v4, v6
	v_mad_u64_u32 v[2:3], null, v5, v6, 0
	v_mad_u64_u32 v[0:1], null, v4, v8, 0
	;; [unrolled: 1-line block ×3, first 2 shown]
	s_delay_alu instid0(VALU_DEP_2) | instskip(NEXT) | instid1(VALU_DEP_3)
	v_add_co_u32 v0, vcc_lo, v9, v0
	v_add_co_ci_u32_e32 v1, vcc_lo, 0, v1, vcc_lo
	s_delay_alu instid0(VALU_DEP_2) | instskip(NEXT) | instid1(VALU_DEP_2)
	v_add_co_u32 v0, vcc_lo, v0, v2
	v_add_co_ci_u32_e32 v0, vcc_lo, v1, v3, vcc_lo
	v_add_co_ci_u32_e32 v1, vcc_lo, 0, v7, vcc_lo
	s_delay_alu instid0(VALU_DEP_2) | instskip(NEXT) | instid1(VALU_DEP_2)
	v_add_co_u32 v2, vcc_lo, v0, v6
	v_add_co_ci_u32_e32 v3, vcc_lo, 0, v1, vcc_lo
	s_delay_alu instid0(VALU_DEP_2) | instskip(SKIP_1) | instid1(VALU_DEP_3)
	v_mul_lo_u32 v6, s7, v2
	v_mad_u64_u32 v[0:1], null, s6, v2, 0
	v_mul_lo_u32 v7, s6, v3
	s_delay_alu instid0(VALU_DEP_2) | instskip(NEXT) | instid1(VALU_DEP_2)
	v_sub_co_u32 v0, vcc_lo, v4, v0
	v_add3_u32 v1, v1, v7, v6
	s_delay_alu instid0(VALU_DEP_1) | instskip(NEXT) | instid1(VALU_DEP_1)
	v_sub_nc_u32_e32 v6, v5, v1
	v_subrev_co_ci_u32_e64 v6, s2, s7, v6, vcc_lo
	v_add_co_u32 v7, s2, v2, 2
	s_delay_alu instid0(VALU_DEP_1) | instskip(SKIP_3) | instid1(VALU_DEP_3)
	v_add_co_ci_u32_e64 v8, s2, 0, v3, s2
	v_sub_co_u32 v9, s2, v0, s6
	v_sub_co_ci_u32_e32 v1, vcc_lo, v5, v1, vcc_lo
	v_subrev_co_ci_u32_e64 v6, s2, 0, v6, s2
	v_cmp_le_u32_e32 vcc_lo, s6, v9
	s_delay_alu instid0(VALU_DEP_3) | instskip(SKIP_1) | instid1(VALU_DEP_4)
	v_cmp_eq_u32_e64 s2, s7, v1
	v_cndmask_b32_e64 v9, 0, -1, vcc_lo
	v_cmp_le_u32_e32 vcc_lo, s7, v6
	v_cndmask_b32_e64 v10, 0, -1, vcc_lo
	v_cmp_le_u32_e32 vcc_lo, s6, v0
	;; [unrolled: 2-line block ×3, first 2 shown]
	v_cndmask_b32_e64 v11, 0, -1, vcc_lo
	v_cmp_eq_u32_e32 vcc_lo, s7, v6
	s_delay_alu instid0(VALU_DEP_2) | instskip(SKIP_3) | instid1(VALU_DEP_3)
	v_cndmask_b32_e64 v0, v11, v0, s2
	v_cndmask_b32_e32 v6, v10, v9, vcc_lo
	v_add_co_u32 v9, vcc_lo, v2, 1
	v_add_co_ci_u32_e32 v10, vcc_lo, 0, v3, vcc_lo
	v_cmp_ne_u32_e32 vcc_lo, 0, v6
	s_delay_alu instid0(VALU_DEP_2) | instskip(SKIP_1) | instid1(VALU_DEP_2)
	v_dual_cndmask_b32 v1, v10, v8 :: v_dual_cndmask_b32 v6, v9, v7
	v_cmp_ne_u32_e32 vcc_lo, 0, v0
	v_dual_cndmask_b32 v0, v3, v1 :: v_dual_cndmask_b32 v1, v2, v6
	s_delay_alu instid0(VALU_DEP_1) | instskip(NEXT) | instid1(VALU_DEP_2)
	v_xor_b32_e32 v2, s4, v0
	v_xor_b32_e32 v1, s4, v1
	s_delay_alu instid0(VALU_DEP_1) | instskip(NEXT) | instid1(VALU_DEP_3)
	v_sub_co_u32 v0, vcc_lo, v1, s4
	v_subrev_co_ci_u32_e32 v1, vcc_lo, s4, v2, vcc_lo
.LBB0_3:
	s_and_not1_saveexec_b32 s2, s11
	s_cbranch_execz .LBB0_5
; %bb.4:
	v_cvt_f32_u32_e32 v0, s10
	s_sub_i32 s4, 0, s10
	s_delay_alu instid0(VALU_DEP_1) | instskip(SKIP_2) | instid1(VALU_DEP_1)
	v_rcp_iflag_f32_e32 v0, v0
	s_waitcnt_depctr 0xfff
	v_mul_f32_e32 v0, 0x4f7ffffe, v0
	v_cvt_u32_f32_e32 v0, v0
	s_delay_alu instid0(VALU_DEP_1) | instskip(NEXT) | instid1(VALU_DEP_1)
	v_mul_lo_u32 v1, s4, v0
	v_mul_hi_u32 v1, v0, v1
	s_delay_alu instid0(VALU_DEP_1) | instskip(NEXT) | instid1(VALU_DEP_1)
	v_add_nc_u32_e32 v0, v0, v1
	v_mul_hi_u32 v0, v4, v0
	s_delay_alu instid0(VALU_DEP_1) | instskip(SKIP_1) | instid1(VALU_DEP_2)
	v_mul_lo_u32 v1, v0, s10
	v_add_nc_u32_e32 v2, 1, v0
	v_sub_nc_u32_e32 v1, v4, v1
	s_delay_alu instid0(VALU_DEP_1) | instskip(SKIP_1) | instid1(VALU_DEP_2)
	v_subrev_nc_u32_e32 v3, s10, v1
	v_cmp_le_u32_e32 vcc_lo, s10, v1
	v_dual_cndmask_b32 v1, v1, v3 :: v_dual_cndmask_b32 v0, v0, v2
	s_delay_alu instid0(VALU_DEP_1) | instskip(NEXT) | instid1(VALU_DEP_2)
	v_cmp_le_u32_e32 vcc_lo, s10, v1
	v_dual_mov_b32 v1, 0 :: v_dual_add_nc_u32 v2, 1, v0
	s_delay_alu instid0(VALU_DEP_1)
	v_cndmask_b32_e32 v0, v0, v2, vcc_lo
.LBB0_5:
	s_or_b32 exec_lo, exec_lo, s2
	s_delay_alu instid0(VALU_DEP_1) | instskip(NEXT) | instid1(VALU_DEP_2)
	v_mul_lo_u32 v6, s9, v0
	v_mul_lo_u32 v7, s10, v1
	v_mad_u64_u32 v[2:3], null, s10, v0, 0
	s_delay_alu instid0(VALU_DEP_1) | instskip(NEXT) | instid1(VALU_DEP_2)
	v_add3_u32 v3, v3, v7, v6
	v_sub_co_u32 v6, vcc_lo, v4, v2
	v_mov_b32_e32 v2, 0
	s_delay_alu instid0(VALU_DEP_3) | instskip(NEXT) | instid1(VALU_DEP_1)
	v_sub_co_ci_u32_e32 v7, vcc_lo, v5, v3, vcc_lo
	v_or_b32_e32 v3, s8, v7
	s_delay_alu instid0(VALU_DEP_1) | instskip(SKIP_1) | instid1(SALU_CYCLE_1)
	v_cmp_ne_u64_e32 vcc_lo, 0, v[2:3]
                                        ; implicit-def: $vgpr2_vgpr3
	s_and_saveexec_b32 s2, vcc_lo
	s_xor_b32 s9, exec_lo, s2
	s_cbranch_execz .LBB0_7
; %bb.6:
	s_ashr_i32 s4, s8, 31
	s_delay_alu instid0(SALU_CYCLE_1) | instskip(SKIP_2) | instid1(SALU_CYCLE_1)
	s_add_u32 s6, s3, s4
	s_mov_b32 s5, s4
	s_addc_u32 s7, s8, s4
	s_xor_b64 s[6:7], s[6:7], s[4:5]
	s_delay_alu instid0(SALU_CYCLE_1) | instskip(SKIP_3) | instid1(VALU_DEP_1)
	v_cvt_f32_u32_e32 v2, s6
	v_cvt_f32_u32_e32 v3, s7
	s_sub_u32 s2, 0, s6
	s_subb_u32 s5, 0, s7
	v_fmamk_f32 v2, v3, 0x4f800000, v2
	s_delay_alu instid0(VALU_DEP_1) | instskip(SKIP_2) | instid1(VALU_DEP_1)
	v_rcp_f32_e32 v2, v2
	s_waitcnt_depctr 0xfff
	v_mul_f32_e32 v2, 0x5f7ffffc, v2
	v_mul_f32_e32 v3, 0x2f800000, v2
	s_delay_alu instid0(VALU_DEP_1) | instskip(NEXT) | instid1(VALU_DEP_1)
	v_trunc_f32_e32 v3, v3
	v_fmamk_f32 v2, v3, 0xcf800000, v2
	v_cvt_u32_f32_e32 v3, v3
	s_delay_alu instid0(VALU_DEP_2) | instskip(NEXT) | instid1(VALU_DEP_2)
	v_cvt_u32_f32_e32 v2, v2
	v_mul_lo_u32 v8, s2, v3
	s_delay_alu instid0(VALU_DEP_2) | instskip(SKIP_1) | instid1(VALU_DEP_2)
	v_mul_hi_u32 v9, s2, v2
	v_mul_lo_u32 v10, s5, v2
	v_add_nc_u32_e32 v8, v9, v8
	v_mul_lo_u32 v9, s2, v2
	s_delay_alu instid0(VALU_DEP_2) | instskip(NEXT) | instid1(VALU_DEP_2)
	v_add_nc_u32_e32 v8, v8, v10
	v_mul_hi_u32 v10, v2, v9
	s_delay_alu instid0(VALU_DEP_2)
	v_mul_lo_u32 v11, v2, v8
	v_mul_hi_u32 v12, v2, v8
	v_mul_hi_u32 v13, v3, v9
	v_mul_lo_u32 v9, v3, v9
	v_mul_hi_u32 v14, v3, v8
	v_mul_lo_u32 v8, v3, v8
	v_add_co_u32 v10, vcc_lo, v10, v11
	v_add_co_ci_u32_e32 v11, vcc_lo, 0, v12, vcc_lo
	s_delay_alu instid0(VALU_DEP_2) | instskip(NEXT) | instid1(VALU_DEP_2)
	v_add_co_u32 v9, vcc_lo, v10, v9
	v_add_co_ci_u32_e32 v9, vcc_lo, v11, v13, vcc_lo
	v_add_co_ci_u32_e32 v10, vcc_lo, 0, v14, vcc_lo
	v_ashrrev_i32_e32 v13, 31, v7
	s_delay_alu instid0(VALU_DEP_3) | instskip(NEXT) | instid1(VALU_DEP_3)
	v_add_co_u32 v8, vcc_lo, v9, v8
	v_add_co_ci_u32_e32 v9, vcc_lo, 0, v10, vcc_lo
	s_delay_alu instid0(VALU_DEP_2) | instskip(NEXT) | instid1(VALU_DEP_2)
	v_add_co_u32 v2, vcc_lo, v2, v8
	v_add_co_ci_u32_e32 v3, vcc_lo, v3, v9, vcc_lo
	s_delay_alu instid0(VALU_DEP_2) | instskip(SKIP_1) | instid1(VALU_DEP_3)
	v_mul_hi_u32 v8, s2, v2
	v_mul_lo_u32 v10, s5, v2
	v_mul_lo_u32 v9, s2, v3
	s_delay_alu instid0(VALU_DEP_1) | instskip(SKIP_1) | instid1(VALU_DEP_2)
	v_add_nc_u32_e32 v8, v8, v9
	v_mul_lo_u32 v9, s2, v2
	v_add_nc_u32_e32 v8, v8, v10
	s_delay_alu instid0(VALU_DEP_2) | instskip(NEXT) | instid1(VALU_DEP_2)
	v_mul_hi_u32 v10, v2, v9
	v_mul_lo_u32 v11, v2, v8
	v_mul_hi_u32 v12, v2, v8
	v_mul_hi_u32 v14, v3, v9
	v_mul_lo_u32 v9, v3, v9
	v_mul_hi_u32 v15, v3, v8
	v_mul_lo_u32 v8, v3, v8
	v_add_co_u32 v10, vcc_lo, v10, v11
	v_add_co_ci_u32_e32 v11, vcc_lo, 0, v12, vcc_lo
	s_delay_alu instid0(VALU_DEP_2) | instskip(NEXT) | instid1(VALU_DEP_2)
	v_add_co_u32 v9, vcc_lo, v10, v9
	v_add_co_ci_u32_e32 v9, vcc_lo, v11, v14, vcc_lo
	v_add_co_ci_u32_e32 v10, vcc_lo, 0, v15, vcc_lo
	v_add_co_u32 v11, vcc_lo, v6, v13
	v_add_co_ci_u32_e32 v12, vcc_lo, v7, v13, vcc_lo
	s_delay_alu instid0(VALU_DEP_4) | instskip(NEXT) | instid1(VALU_DEP_4)
	v_add_co_u32 v8, vcc_lo, v9, v8
	v_add_co_ci_u32_e32 v9, vcc_lo, 0, v10, vcc_lo
	s_delay_alu instid0(VALU_DEP_4) | instskip(NEXT) | instid1(VALU_DEP_3)
	v_xor_b32_e32 v14, v11, v13
	v_add_co_u32 v10, vcc_lo, v2, v8
	s_delay_alu instid0(VALU_DEP_3) | instskip(SKIP_1) | instid1(VALU_DEP_3)
	v_add_co_ci_u32_e32 v15, vcc_lo, v3, v9, vcc_lo
	v_xor_b32_e32 v12, v12, v13
	v_mul_hi_u32 v16, v14, v10
	s_delay_alu instid0(VALU_DEP_3) | instskip(NEXT) | instid1(VALU_DEP_3)
	v_mad_u64_u32 v[2:3], null, v14, v15, 0
	v_mad_u64_u32 v[8:9], null, v12, v10, 0
	;; [unrolled: 1-line block ×3, first 2 shown]
	s_delay_alu instid0(VALU_DEP_3) | instskip(NEXT) | instid1(VALU_DEP_4)
	v_add_co_u32 v2, vcc_lo, v16, v2
	v_add_co_ci_u32_e32 v3, vcc_lo, 0, v3, vcc_lo
	s_delay_alu instid0(VALU_DEP_2) | instskip(NEXT) | instid1(VALU_DEP_2)
	v_add_co_u32 v2, vcc_lo, v2, v8
	v_add_co_ci_u32_e32 v2, vcc_lo, v3, v9, vcc_lo
	v_add_co_ci_u32_e32 v3, vcc_lo, 0, v11, vcc_lo
	s_delay_alu instid0(VALU_DEP_2) | instskip(NEXT) | instid1(VALU_DEP_2)
	v_add_co_u32 v8, vcc_lo, v2, v10
	v_add_co_ci_u32_e32 v9, vcc_lo, 0, v3, vcc_lo
	s_delay_alu instid0(VALU_DEP_2) | instskip(SKIP_1) | instid1(VALU_DEP_3)
	v_mul_lo_u32 v10, s7, v8
	v_mad_u64_u32 v[2:3], null, s6, v8, 0
	v_mul_lo_u32 v11, s6, v9
	s_delay_alu instid0(VALU_DEP_2) | instskip(NEXT) | instid1(VALU_DEP_2)
	v_sub_co_u32 v2, vcc_lo, v14, v2
	v_add3_u32 v3, v3, v11, v10
	s_delay_alu instid0(VALU_DEP_1) | instskip(NEXT) | instid1(VALU_DEP_1)
	v_sub_nc_u32_e32 v10, v12, v3
	v_subrev_co_ci_u32_e64 v10, s2, s7, v10, vcc_lo
	v_add_co_u32 v11, s2, v8, 2
	s_delay_alu instid0(VALU_DEP_1) | instskip(SKIP_3) | instid1(VALU_DEP_3)
	v_add_co_ci_u32_e64 v14, s2, 0, v9, s2
	v_sub_co_u32 v15, s2, v2, s6
	v_sub_co_ci_u32_e32 v3, vcc_lo, v12, v3, vcc_lo
	v_subrev_co_ci_u32_e64 v10, s2, 0, v10, s2
	v_cmp_le_u32_e32 vcc_lo, s6, v15
	s_delay_alu instid0(VALU_DEP_3) | instskip(SKIP_1) | instid1(VALU_DEP_4)
	v_cmp_eq_u32_e64 s2, s7, v3
	v_cndmask_b32_e64 v12, 0, -1, vcc_lo
	v_cmp_le_u32_e32 vcc_lo, s7, v10
	v_cndmask_b32_e64 v15, 0, -1, vcc_lo
	v_cmp_le_u32_e32 vcc_lo, s6, v2
	;; [unrolled: 2-line block ×3, first 2 shown]
	v_cndmask_b32_e64 v16, 0, -1, vcc_lo
	v_cmp_eq_u32_e32 vcc_lo, s7, v10
	s_delay_alu instid0(VALU_DEP_2) | instskip(SKIP_3) | instid1(VALU_DEP_3)
	v_cndmask_b32_e64 v2, v16, v2, s2
	v_cndmask_b32_e32 v10, v15, v12, vcc_lo
	v_add_co_u32 v12, vcc_lo, v8, 1
	v_add_co_ci_u32_e32 v15, vcc_lo, 0, v9, vcc_lo
	v_cmp_ne_u32_e32 vcc_lo, 0, v10
	s_delay_alu instid0(VALU_DEP_2) | instskip(SKIP_2) | instid1(VALU_DEP_3)
	v_dual_cndmask_b32 v3, v15, v14 :: v_dual_cndmask_b32 v10, v12, v11
	v_cmp_ne_u32_e32 vcc_lo, 0, v2
	v_xor_b32_e32 v11, s4, v13
	v_dual_cndmask_b32 v2, v9, v3 :: v_dual_cndmask_b32 v3, v8, v10
	s_delay_alu instid0(VALU_DEP_1) | instskip(NEXT) | instid1(VALU_DEP_2)
	v_xor_b32_e32 v8, v2, v11
	v_xor_b32_e32 v3, v3, v11
	s_delay_alu instid0(VALU_DEP_1) | instskip(NEXT) | instid1(VALU_DEP_3)
	v_sub_co_u32 v2, vcc_lo, v3, v11
	v_sub_co_ci_u32_e32 v3, vcc_lo, v8, v11, vcc_lo
.LBB0_7:
	s_and_not1_saveexec_b32 s2, s9
	s_cbranch_execz .LBB0_9
; %bb.8:
	v_cvt_f32_u32_e32 v2, s3
	s_sub_i32 s4, 0, s3
	s_delay_alu instid0(VALU_DEP_1) | instskip(SKIP_2) | instid1(VALU_DEP_1)
	v_rcp_iflag_f32_e32 v2, v2
	s_waitcnt_depctr 0xfff
	v_mul_f32_e32 v2, 0x4f7ffffe, v2
	v_cvt_u32_f32_e32 v2, v2
	s_delay_alu instid0(VALU_DEP_1) | instskip(NEXT) | instid1(VALU_DEP_1)
	v_mul_lo_u32 v3, s4, v2
	v_mul_hi_u32 v3, v2, v3
	s_delay_alu instid0(VALU_DEP_1) | instskip(NEXT) | instid1(VALU_DEP_1)
	v_add_nc_u32_e32 v2, v2, v3
	v_mul_hi_u32 v2, v6, v2
	s_delay_alu instid0(VALU_DEP_1) | instskip(SKIP_1) | instid1(VALU_DEP_2)
	v_mul_lo_u32 v3, v2, s3
	v_add_nc_u32_e32 v8, 1, v2
	v_sub_nc_u32_e32 v3, v6, v3
	s_delay_alu instid0(VALU_DEP_1) | instskip(SKIP_1) | instid1(VALU_DEP_2)
	v_subrev_nc_u32_e32 v9, s3, v3
	v_cmp_le_u32_e32 vcc_lo, s3, v3
	v_dual_cndmask_b32 v3, v3, v9 :: v_dual_cndmask_b32 v2, v2, v8
	s_delay_alu instid0(VALU_DEP_1) | instskip(NEXT) | instid1(VALU_DEP_2)
	v_cmp_le_u32_e32 vcc_lo, s3, v3
	v_dual_mov_b32 v3, 0 :: v_dual_add_nc_u32 v8, 1, v2
	s_delay_alu instid0(VALU_DEP_1)
	v_cndmask_b32_e32 v2, v2, v8, vcc_lo
.LBB0_9:
	s_or_b32 exec_lo, exec_lo, s2
	s_delay_alu instid0(VALU_DEP_1) | instskip(NEXT) | instid1(VALU_DEP_2)
	v_mul_lo_u32 v10, s8, v2
	v_mul_lo_u32 v11, s3, v3
	v_mad_u64_u32 v[8:9], null, s3, v2, 0
	s_delay_alu instid0(VALU_DEP_1) | instskip(NEXT) | instid1(VALU_DEP_2)
	v_add3_u32 v9, v9, v11, v10
	v_sub_co_u32 v12, vcc_lo, v6, v8
	v_mov_b32_e32 v6, 0
	s_delay_alu instid0(VALU_DEP_3) | instskip(NEXT) | instid1(VALU_DEP_1)
	v_sub_co_ci_u32_e32 v13, vcc_lo, v7, v9, vcc_lo
	v_or_b32_e32 v7, s23, v13
	s_delay_alu instid0(VALU_DEP_1) | instskip(SKIP_1) | instid1(SALU_CYCLE_1)
	v_cmp_ne_u64_e32 vcc_lo, 0, v[6:7]
                                        ; implicit-def: $vgpr6_vgpr7
	s_and_saveexec_b32 s2, vcc_lo
	s_xor_b32 s3, exec_lo, s2
	s_cbranch_execz .LBB0_11
; %bb.10:
	s_ashr_i32 s4, s23, 31
	s_delay_alu instid0(SALU_CYCLE_1) | instskip(SKIP_2) | instid1(SALU_CYCLE_1)
	s_add_u32 s6, s22, s4
	s_mov_b32 s5, s4
	s_addc_u32 s7, s23, s4
	s_xor_b64 s[6:7], s[6:7], s[4:5]
	s_delay_alu instid0(SALU_CYCLE_1) | instskip(SKIP_3) | instid1(VALU_DEP_1)
	v_cvt_f32_u32_e32 v6, s6
	v_cvt_f32_u32_e32 v7, s7
	s_sub_u32 s2, 0, s6
	s_subb_u32 s5, 0, s7
	v_fmamk_f32 v6, v7, 0x4f800000, v6
	s_delay_alu instid0(VALU_DEP_1) | instskip(SKIP_2) | instid1(VALU_DEP_1)
	v_rcp_f32_e32 v6, v6
	s_waitcnt_depctr 0xfff
	v_mul_f32_e32 v6, 0x5f7ffffc, v6
	v_mul_f32_e32 v7, 0x2f800000, v6
	s_delay_alu instid0(VALU_DEP_1) | instskip(NEXT) | instid1(VALU_DEP_1)
	v_trunc_f32_e32 v7, v7
	v_fmamk_f32 v6, v7, 0xcf800000, v6
	v_cvt_u32_f32_e32 v7, v7
	s_delay_alu instid0(VALU_DEP_2) | instskip(NEXT) | instid1(VALU_DEP_2)
	v_cvt_u32_f32_e32 v6, v6
	v_mul_lo_u32 v8, s2, v7
	s_delay_alu instid0(VALU_DEP_2) | instskip(SKIP_1) | instid1(VALU_DEP_2)
	v_mul_hi_u32 v9, s2, v6
	v_mul_lo_u32 v10, s5, v6
	v_add_nc_u32_e32 v8, v9, v8
	v_mul_lo_u32 v9, s2, v6
	s_delay_alu instid0(VALU_DEP_2) | instskip(NEXT) | instid1(VALU_DEP_2)
	v_add_nc_u32_e32 v8, v8, v10
	v_mul_hi_u32 v10, v6, v9
	s_delay_alu instid0(VALU_DEP_2)
	v_mul_lo_u32 v11, v6, v8
	v_mul_hi_u32 v14, v6, v8
	v_mul_hi_u32 v15, v7, v9
	v_mul_lo_u32 v9, v7, v9
	v_mul_hi_u32 v16, v7, v8
	v_mul_lo_u32 v8, v7, v8
	v_add_co_u32 v10, vcc_lo, v10, v11
	v_add_co_ci_u32_e32 v11, vcc_lo, 0, v14, vcc_lo
	s_delay_alu instid0(VALU_DEP_2) | instskip(NEXT) | instid1(VALU_DEP_2)
	v_add_co_u32 v9, vcc_lo, v10, v9
	v_add_co_ci_u32_e32 v9, vcc_lo, v11, v15, vcc_lo
	v_add_co_ci_u32_e32 v10, vcc_lo, 0, v16, vcc_lo
	v_ashrrev_i32_e32 v15, 31, v13
	s_delay_alu instid0(VALU_DEP_3) | instskip(NEXT) | instid1(VALU_DEP_3)
	v_add_co_u32 v8, vcc_lo, v9, v8
	v_add_co_ci_u32_e32 v9, vcc_lo, 0, v10, vcc_lo
	s_delay_alu instid0(VALU_DEP_2) | instskip(NEXT) | instid1(VALU_DEP_2)
	v_add_co_u32 v6, vcc_lo, v6, v8
	v_add_co_ci_u32_e32 v7, vcc_lo, v7, v9, vcc_lo
	s_delay_alu instid0(VALU_DEP_2) | instskip(SKIP_1) | instid1(VALU_DEP_3)
	v_mul_hi_u32 v8, s2, v6
	v_mul_lo_u32 v10, s5, v6
	v_mul_lo_u32 v9, s2, v7
	s_delay_alu instid0(VALU_DEP_1) | instskip(SKIP_1) | instid1(VALU_DEP_2)
	v_add_nc_u32_e32 v8, v8, v9
	v_mul_lo_u32 v9, s2, v6
	v_add_nc_u32_e32 v8, v8, v10
	s_delay_alu instid0(VALU_DEP_2) | instskip(NEXT) | instid1(VALU_DEP_2)
	v_mul_hi_u32 v10, v6, v9
	v_mul_lo_u32 v11, v6, v8
	v_mul_hi_u32 v14, v6, v8
	v_mul_hi_u32 v16, v7, v9
	v_mul_lo_u32 v9, v7, v9
	v_mul_hi_u32 v17, v7, v8
	v_mul_lo_u32 v8, v7, v8
	v_add_co_u32 v10, vcc_lo, v10, v11
	v_add_co_ci_u32_e32 v11, vcc_lo, 0, v14, vcc_lo
	s_delay_alu instid0(VALU_DEP_2) | instskip(NEXT) | instid1(VALU_DEP_2)
	v_add_co_u32 v9, vcc_lo, v10, v9
	v_add_co_ci_u32_e32 v9, vcc_lo, v11, v16, vcc_lo
	v_add_co_ci_u32_e32 v10, vcc_lo, 0, v17, vcc_lo
	v_add_co_u32 v11, vcc_lo, v12, v15
	v_add_co_ci_u32_e32 v14, vcc_lo, v13, v15, vcc_lo
	s_delay_alu instid0(VALU_DEP_4) | instskip(NEXT) | instid1(VALU_DEP_4)
	v_add_co_u32 v8, vcc_lo, v9, v8
	v_add_co_ci_u32_e32 v9, vcc_lo, 0, v10, vcc_lo
	s_delay_alu instid0(VALU_DEP_4) | instskip(NEXT) | instid1(VALU_DEP_3)
	v_xor_b32_e32 v16, v11, v15
	v_add_co_u32 v10, vcc_lo, v6, v8
	s_delay_alu instid0(VALU_DEP_3) | instskip(SKIP_1) | instid1(VALU_DEP_3)
	v_add_co_ci_u32_e32 v17, vcc_lo, v7, v9, vcc_lo
	v_xor_b32_e32 v14, v14, v15
	v_mul_hi_u32 v18, v16, v10
	s_delay_alu instid0(VALU_DEP_3) | instskip(NEXT) | instid1(VALU_DEP_3)
	v_mad_u64_u32 v[6:7], null, v16, v17, 0
	v_mad_u64_u32 v[8:9], null, v14, v10, 0
	;; [unrolled: 1-line block ×3, first 2 shown]
	s_delay_alu instid0(VALU_DEP_3) | instskip(NEXT) | instid1(VALU_DEP_4)
	v_add_co_u32 v6, vcc_lo, v18, v6
	v_add_co_ci_u32_e32 v7, vcc_lo, 0, v7, vcc_lo
	s_delay_alu instid0(VALU_DEP_2) | instskip(NEXT) | instid1(VALU_DEP_2)
	v_add_co_u32 v6, vcc_lo, v6, v8
	v_add_co_ci_u32_e32 v6, vcc_lo, v7, v9, vcc_lo
	v_add_co_ci_u32_e32 v7, vcc_lo, 0, v11, vcc_lo
	s_delay_alu instid0(VALU_DEP_2) | instskip(NEXT) | instid1(VALU_DEP_2)
	v_add_co_u32 v8, vcc_lo, v6, v10
	v_add_co_ci_u32_e32 v9, vcc_lo, 0, v7, vcc_lo
	s_delay_alu instid0(VALU_DEP_2) | instskip(SKIP_1) | instid1(VALU_DEP_3)
	v_mul_lo_u32 v10, s7, v8
	v_mad_u64_u32 v[6:7], null, s6, v8, 0
	v_mul_lo_u32 v11, s6, v9
	s_delay_alu instid0(VALU_DEP_2) | instskip(NEXT) | instid1(VALU_DEP_2)
	v_sub_co_u32 v6, vcc_lo, v16, v6
	v_add3_u32 v7, v7, v11, v10
	s_delay_alu instid0(VALU_DEP_1) | instskip(NEXT) | instid1(VALU_DEP_1)
	v_sub_nc_u32_e32 v10, v14, v7
	v_subrev_co_ci_u32_e64 v10, s2, s7, v10, vcc_lo
	v_add_co_u32 v11, s2, v8, 2
	s_delay_alu instid0(VALU_DEP_1) | instskip(SKIP_3) | instid1(VALU_DEP_3)
	v_add_co_ci_u32_e64 v16, s2, 0, v9, s2
	v_sub_co_u32 v17, s2, v6, s6
	v_sub_co_ci_u32_e32 v7, vcc_lo, v14, v7, vcc_lo
	v_subrev_co_ci_u32_e64 v10, s2, 0, v10, s2
	v_cmp_le_u32_e32 vcc_lo, s6, v17
	s_delay_alu instid0(VALU_DEP_3) | instskip(SKIP_1) | instid1(VALU_DEP_4)
	v_cmp_eq_u32_e64 s2, s7, v7
	v_cndmask_b32_e64 v14, 0, -1, vcc_lo
	v_cmp_le_u32_e32 vcc_lo, s7, v10
	v_cndmask_b32_e64 v17, 0, -1, vcc_lo
	v_cmp_le_u32_e32 vcc_lo, s6, v6
	;; [unrolled: 2-line block ×3, first 2 shown]
	v_cndmask_b32_e64 v18, 0, -1, vcc_lo
	v_cmp_eq_u32_e32 vcc_lo, s7, v10
	s_delay_alu instid0(VALU_DEP_2) | instskip(SKIP_3) | instid1(VALU_DEP_3)
	v_cndmask_b32_e64 v6, v18, v6, s2
	v_cndmask_b32_e32 v10, v17, v14, vcc_lo
	v_add_co_u32 v14, vcc_lo, v8, 1
	v_add_co_ci_u32_e32 v17, vcc_lo, 0, v9, vcc_lo
	v_cmp_ne_u32_e32 vcc_lo, 0, v10
	s_delay_alu instid0(VALU_DEP_2) | instskip(SKIP_2) | instid1(VALU_DEP_3)
	v_dual_cndmask_b32 v7, v17, v16 :: v_dual_cndmask_b32 v10, v14, v11
	v_cmp_ne_u32_e32 vcc_lo, 0, v6
	v_xor_b32_e32 v11, s4, v15
	v_dual_cndmask_b32 v6, v9, v7 :: v_dual_cndmask_b32 v7, v8, v10
	s_delay_alu instid0(VALU_DEP_1) | instskip(NEXT) | instid1(VALU_DEP_2)
	v_xor_b32_e32 v8, v6, v11
	v_xor_b32_e32 v7, v7, v11
	s_delay_alu instid0(VALU_DEP_1) | instskip(NEXT) | instid1(VALU_DEP_3)
	v_sub_co_u32 v6, vcc_lo, v7, v11
	v_sub_co_ci_u32_e32 v7, vcc_lo, v8, v11, vcc_lo
.LBB0_11:
	s_and_not1_saveexec_b32 s2, s3
	s_cbranch_execz .LBB0_13
; %bb.12:
	v_cvt_f32_u32_e32 v6, s22
	s_sub_i32 s3, 0, s22
	s_delay_alu instid0(VALU_DEP_1) | instskip(SKIP_2) | instid1(VALU_DEP_1)
	v_rcp_iflag_f32_e32 v6, v6
	s_waitcnt_depctr 0xfff
	v_mul_f32_e32 v6, 0x4f7ffffe, v6
	v_cvt_u32_f32_e32 v6, v6
	s_delay_alu instid0(VALU_DEP_1) | instskip(NEXT) | instid1(VALU_DEP_1)
	v_mul_lo_u32 v7, s3, v6
	v_mul_hi_u32 v7, v6, v7
	s_delay_alu instid0(VALU_DEP_1) | instskip(NEXT) | instid1(VALU_DEP_1)
	v_add_nc_u32_e32 v6, v6, v7
	v_mul_hi_u32 v6, v12, v6
	s_delay_alu instid0(VALU_DEP_1) | instskip(SKIP_1) | instid1(VALU_DEP_2)
	v_mul_lo_u32 v7, v6, s22
	v_add_nc_u32_e32 v8, 1, v6
	v_sub_nc_u32_e32 v7, v12, v7
	s_delay_alu instid0(VALU_DEP_1) | instskip(SKIP_1) | instid1(VALU_DEP_2)
	v_subrev_nc_u32_e32 v9, s22, v7
	v_cmp_le_u32_e32 vcc_lo, s22, v7
	v_dual_cndmask_b32 v7, v7, v9 :: v_dual_cndmask_b32 v6, v6, v8
	s_delay_alu instid0(VALU_DEP_1) | instskip(NEXT) | instid1(VALU_DEP_2)
	v_cmp_le_u32_e32 vcc_lo, s22, v7
	v_dual_mov_b32 v7, 0 :: v_dual_add_nc_u32 v8, 1, v6
	s_delay_alu instid0(VALU_DEP_1)
	v_cndmask_b32_e32 v6, v6, v8, vcc_lo
.LBB0_13:
	s_or_b32 exec_lo, exec_lo, s2
	s_load_b512 s[36:51], s[0:1], 0x40
	v_mov_b32_e32 v8, 0
	s_waitcnt lgkmcnt(0)
	s_mul_i32 s2, s42, s41
	s_mul_hi_u32 s4, s42, s40
	s_mul_i32 s5, s43, s40
	s_mul_i32 s3, s42, s40
	s_add_i32 s8, s4, s2
	s_mul_i32 s2, s3, s45
	s_mul_hi_u32 s4, s3, s44
	s_add_i32 s8, s8, s5
	s_add_i32 s2, s4, s2
	s_mul_i32 s4, s8, s44
	s_mul_i32 s10, s3, s44
	s_add_i32 s9, s2, s4
	s_delay_alu instid0(SALU_CYCLE_1) | instskip(NEXT) | instid1(VALU_DEP_1)
	v_or_b32_e32 v9, s9, v5
	v_cmp_ne_u64_e32 vcc_lo, 0, v[8:9]
                                        ; implicit-def: $vgpr8_vgpr9
	s_and_saveexec_b32 s2, vcc_lo
	s_delay_alu instid0(SALU_CYCLE_1)
	s_xor_b32 s11, exec_lo, s2
	s_cbranch_execz .LBB0_15
; %bb.14:
	s_ashr_i32 s4, s9, 31
	s_delay_alu instid0(SALU_CYCLE_1) | instskip(SKIP_2) | instid1(SALU_CYCLE_1)
	s_add_u32 s6, s10, s4
	s_mov_b32 s5, s4
	s_addc_u32 s7, s9, s4
	s_xor_b64 s[6:7], s[6:7], s[4:5]
	s_delay_alu instid0(SALU_CYCLE_1) | instskip(SKIP_3) | instid1(VALU_DEP_1)
	v_cvt_f32_u32_e32 v8, s6
	v_cvt_f32_u32_e32 v9, s7
	s_sub_u32 s2, 0, s6
	s_subb_u32 s5, 0, s7
	v_fmamk_f32 v8, v9, 0x4f800000, v8
	s_delay_alu instid0(VALU_DEP_1) | instskip(SKIP_2) | instid1(VALU_DEP_1)
	v_rcp_f32_e32 v8, v8
	s_waitcnt_depctr 0xfff
	v_mul_f32_e32 v8, 0x5f7ffffc, v8
	v_mul_f32_e32 v9, 0x2f800000, v8
	s_delay_alu instid0(VALU_DEP_1) | instskip(NEXT) | instid1(VALU_DEP_1)
	v_trunc_f32_e32 v9, v9
	v_fmamk_f32 v8, v9, 0xcf800000, v8
	v_cvt_u32_f32_e32 v9, v9
	s_delay_alu instid0(VALU_DEP_2) | instskip(NEXT) | instid1(VALU_DEP_2)
	v_cvt_u32_f32_e32 v8, v8
	v_mul_lo_u32 v10, s2, v9
	s_delay_alu instid0(VALU_DEP_2) | instskip(SKIP_1) | instid1(VALU_DEP_2)
	v_mul_hi_u32 v11, s2, v8
	v_mul_lo_u32 v14, s5, v8
	v_add_nc_u32_e32 v10, v11, v10
	v_mul_lo_u32 v11, s2, v8
	s_delay_alu instid0(VALU_DEP_2) | instskip(NEXT) | instid1(VALU_DEP_2)
	v_add_nc_u32_e32 v10, v10, v14
	v_mul_hi_u32 v14, v8, v11
	s_delay_alu instid0(VALU_DEP_2)
	v_mul_lo_u32 v15, v8, v10
	v_mul_hi_u32 v16, v8, v10
	v_mul_hi_u32 v17, v9, v11
	v_mul_lo_u32 v11, v9, v11
	v_mul_hi_u32 v18, v9, v10
	v_mul_lo_u32 v10, v9, v10
	v_add_co_u32 v14, vcc_lo, v14, v15
	v_add_co_ci_u32_e32 v15, vcc_lo, 0, v16, vcc_lo
	s_delay_alu instid0(VALU_DEP_2) | instskip(NEXT) | instid1(VALU_DEP_2)
	v_add_co_u32 v11, vcc_lo, v14, v11
	v_add_co_ci_u32_e32 v11, vcc_lo, v15, v17, vcc_lo
	v_add_co_ci_u32_e32 v14, vcc_lo, 0, v18, vcc_lo
	s_delay_alu instid0(VALU_DEP_2) | instskip(NEXT) | instid1(VALU_DEP_2)
	v_add_co_u32 v10, vcc_lo, v11, v10
	v_add_co_ci_u32_e32 v11, vcc_lo, 0, v14, vcc_lo
	s_delay_alu instid0(VALU_DEP_2) | instskip(NEXT) | instid1(VALU_DEP_2)
	v_add_co_u32 v8, vcc_lo, v8, v10
	v_add_co_ci_u32_e32 v9, vcc_lo, v9, v11, vcc_lo
	s_delay_alu instid0(VALU_DEP_2) | instskip(SKIP_1) | instid1(VALU_DEP_3)
	v_mul_hi_u32 v10, s2, v8
	v_mul_lo_u32 v14, s5, v8
	v_mul_lo_u32 v11, s2, v9
	s_delay_alu instid0(VALU_DEP_1) | instskip(SKIP_1) | instid1(VALU_DEP_2)
	v_add_nc_u32_e32 v10, v10, v11
	v_mul_lo_u32 v11, s2, v8
	v_add_nc_u32_e32 v10, v10, v14
	s_delay_alu instid0(VALU_DEP_2) | instskip(NEXT) | instid1(VALU_DEP_2)
	v_mul_hi_u32 v14, v8, v11
	v_mul_lo_u32 v15, v8, v10
	v_mul_hi_u32 v16, v8, v10
	v_mul_hi_u32 v17, v9, v11
	v_mul_lo_u32 v11, v9, v11
	v_mul_hi_u32 v18, v9, v10
	v_mul_lo_u32 v10, v9, v10
	v_add_co_u32 v14, vcc_lo, v14, v15
	v_add_co_ci_u32_e32 v15, vcc_lo, 0, v16, vcc_lo
	s_delay_alu instid0(VALU_DEP_2) | instskip(NEXT) | instid1(VALU_DEP_2)
	v_add_co_u32 v11, vcc_lo, v14, v11
	v_add_co_ci_u32_e32 v11, vcc_lo, v15, v17, vcc_lo
	v_add_co_ci_u32_e32 v14, vcc_lo, 0, v18, vcc_lo
	s_delay_alu instid0(VALU_DEP_2) | instskip(NEXT) | instid1(VALU_DEP_2)
	v_add_co_u32 v10, vcc_lo, v11, v10
	v_add_co_ci_u32_e32 v11, vcc_lo, 0, v14, vcc_lo
	s_delay_alu instid0(VALU_DEP_2) | instskip(NEXT) | instid1(VALU_DEP_2)
	v_add_co_u32 v14, vcc_lo, v8, v10
	v_add_co_ci_u32_e32 v16, vcc_lo, v9, v11, vcc_lo
	s_delay_alu instid0(VALU_DEP_2) | instskip(SKIP_1) | instid1(VALU_DEP_3)
	v_mul_hi_u32 v17, v4, v14
	v_mad_u64_u32 v[10:11], null, v5, v14, 0
	v_mad_u64_u32 v[8:9], null, v4, v16, 0
	;; [unrolled: 1-line block ×3, first 2 shown]
	s_delay_alu instid0(VALU_DEP_2) | instskip(NEXT) | instid1(VALU_DEP_3)
	v_add_co_u32 v8, vcc_lo, v17, v8
	v_add_co_ci_u32_e32 v9, vcc_lo, 0, v9, vcc_lo
	s_delay_alu instid0(VALU_DEP_2) | instskip(NEXT) | instid1(VALU_DEP_2)
	v_add_co_u32 v8, vcc_lo, v8, v10
	v_add_co_ci_u32_e32 v8, vcc_lo, v9, v11, vcc_lo
	v_add_co_ci_u32_e32 v9, vcc_lo, 0, v15, vcc_lo
	s_delay_alu instid0(VALU_DEP_2) | instskip(NEXT) | instid1(VALU_DEP_2)
	v_add_co_u32 v10, vcc_lo, v8, v14
	v_add_co_ci_u32_e32 v11, vcc_lo, 0, v9, vcc_lo
	s_delay_alu instid0(VALU_DEP_2) | instskip(SKIP_1) | instid1(VALU_DEP_3)
	v_mul_lo_u32 v14, s7, v10
	v_mad_u64_u32 v[8:9], null, s6, v10, 0
	v_mul_lo_u32 v15, s6, v11
	s_delay_alu instid0(VALU_DEP_2) | instskip(NEXT) | instid1(VALU_DEP_2)
	v_sub_co_u32 v8, vcc_lo, v4, v8
	v_add3_u32 v9, v9, v15, v14
	s_delay_alu instid0(VALU_DEP_1) | instskip(NEXT) | instid1(VALU_DEP_1)
	v_sub_nc_u32_e32 v14, v5, v9
	v_subrev_co_ci_u32_e64 v14, s2, s7, v14, vcc_lo
	v_add_co_u32 v15, s2, v10, 2
	s_delay_alu instid0(VALU_DEP_1) | instskip(SKIP_3) | instid1(VALU_DEP_3)
	v_add_co_ci_u32_e64 v16, s2, 0, v11, s2
	v_sub_co_u32 v17, s2, v8, s6
	v_sub_co_ci_u32_e32 v9, vcc_lo, v5, v9, vcc_lo
	v_subrev_co_ci_u32_e64 v14, s2, 0, v14, s2
	v_cmp_le_u32_e32 vcc_lo, s6, v17
	s_delay_alu instid0(VALU_DEP_3) | instskip(SKIP_1) | instid1(VALU_DEP_4)
	v_cmp_eq_u32_e64 s2, s7, v9
	v_cndmask_b32_e64 v17, 0, -1, vcc_lo
	v_cmp_le_u32_e32 vcc_lo, s7, v14
	v_cndmask_b32_e64 v18, 0, -1, vcc_lo
	v_cmp_le_u32_e32 vcc_lo, s6, v8
	;; [unrolled: 2-line block ×3, first 2 shown]
	v_cndmask_b32_e64 v19, 0, -1, vcc_lo
	v_cmp_eq_u32_e32 vcc_lo, s7, v14
	s_delay_alu instid0(VALU_DEP_2) | instskip(SKIP_3) | instid1(VALU_DEP_3)
	v_cndmask_b32_e64 v8, v19, v8, s2
	v_cndmask_b32_e32 v14, v18, v17, vcc_lo
	v_add_co_u32 v17, vcc_lo, v10, 1
	v_add_co_ci_u32_e32 v18, vcc_lo, 0, v11, vcc_lo
	v_cmp_ne_u32_e32 vcc_lo, 0, v14
	s_delay_alu instid0(VALU_DEP_2) | instskip(SKIP_1) | instid1(VALU_DEP_2)
	v_dual_cndmask_b32 v9, v18, v16 :: v_dual_cndmask_b32 v14, v17, v15
	v_cmp_ne_u32_e32 vcc_lo, 0, v8
	v_dual_cndmask_b32 v8, v11, v9 :: v_dual_cndmask_b32 v9, v10, v14
	s_delay_alu instid0(VALU_DEP_1) | instskip(NEXT) | instid1(VALU_DEP_2)
	v_xor_b32_e32 v10, s4, v8
	v_xor_b32_e32 v9, s4, v9
	s_delay_alu instid0(VALU_DEP_1) | instskip(NEXT) | instid1(VALU_DEP_3)
	v_sub_co_u32 v8, vcc_lo, v9, s4
	v_subrev_co_ci_u32_e32 v9, vcc_lo, s4, v10, vcc_lo
.LBB0_15:
	s_and_not1_saveexec_b32 s2, s11
	s_cbranch_execz .LBB0_17
; %bb.16:
	v_cvt_f32_u32_e32 v8, s10
	s_sub_i32 s4, 0, s10
	s_delay_alu instid0(VALU_DEP_1) | instskip(SKIP_2) | instid1(VALU_DEP_1)
	v_rcp_iflag_f32_e32 v8, v8
	s_waitcnt_depctr 0xfff
	v_mul_f32_e32 v8, 0x4f7ffffe, v8
	v_cvt_u32_f32_e32 v8, v8
	s_delay_alu instid0(VALU_DEP_1) | instskip(NEXT) | instid1(VALU_DEP_1)
	v_mul_lo_u32 v9, s4, v8
	v_mul_hi_u32 v9, v8, v9
	s_delay_alu instid0(VALU_DEP_1) | instskip(NEXT) | instid1(VALU_DEP_1)
	v_add_nc_u32_e32 v8, v8, v9
	v_mul_hi_u32 v8, v4, v8
	s_delay_alu instid0(VALU_DEP_1) | instskip(SKIP_1) | instid1(VALU_DEP_2)
	v_mul_lo_u32 v9, v8, s10
	v_add_nc_u32_e32 v10, 1, v8
	v_sub_nc_u32_e32 v9, v4, v9
	s_delay_alu instid0(VALU_DEP_1) | instskip(SKIP_1) | instid1(VALU_DEP_2)
	v_subrev_nc_u32_e32 v11, s10, v9
	v_cmp_le_u32_e32 vcc_lo, s10, v9
	v_dual_cndmask_b32 v9, v9, v11 :: v_dual_cndmask_b32 v8, v8, v10
	s_delay_alu instid0(VALU_DEP_1) | instskip(NEXT) | instid1(VALU_DEP_2)
	v_cmp_le_u32_e32 vcc_lo, s10, v9
	v_dual_mov_b32 v9, 0 :: v_dual_add_nc_u32 v10, 1, v8
	s_delay_alu instid0(VALU_DEP_1)
	v_cndmask_b32_e32 v8, v8, v10, vcc_lo
.LBB0_17:
	s_or_b32 exec_lo, exec_lo, s2
	s_delay_alu instid0(VALU_DEP_1) | instskip(NEXT) | instid1(VALU_DEP_2)
	v_mul_lo_u32 v14, s9, v8
	v_mul_lo_u32 v15, s10, v9
	v_mad_u64_u32 v[10:11], null, s10, v8, 0
	s_delay_alu instid0(VALU_DEP_1) | instskip(NEXT) | instid1(VALU_DEP_2)
	v_add3_u32 v11, v11, v15, v14
	v_sub_co_u32 v10, vcc_lo, v4, v10
	v_mov_b32_e32 v4, 0
	s_delay_alu instid0(VALU_DEP_3) | instskip(NEXT) | instid1(VALU_DEP_1)
	v_sub_co_ci_u32_e32 v11, vcc_lo, v5, v11, vcc_lo
	v_or_b32_e32 v5, s8, v11
	s_delay_alu instid0(VALU_DEP_1) | instskip(SKIP_1) | instid1(SALU_CYCLE_1)
	v_cmp_ne_u64_e32 vcc_lo, 0, v[4:5]
                                        ; implicit-def: $vgpr4_vgpr5
	s_and_saveexec_b32 s2, vcc_lo
	s_xor_b32 s9, exec_lo, s2
	s_cbranch_execz .LBB0_19
; %bb.18:
	s_ashr_i32 s4, s8, 31
	s_delay_alu instid0(SALU_CYCLE_1) | instskip(SKIP_2) | instid1(SALU_CYCLE_1)
	s_add_u32 s6, s3, s4
	s_mov_b32 s5, s4
	s_addc_u32 s7, s8, s4
	s_xor_b64 s[6:7], s[6:7], s[4:5]
	s_delay_alu instid0(SALU_CYCLE_1) | instskip(SKIP_3) | instid1(VALU_DEP_1)
	v_cvt_f32_u32_e32 v4, s6
	v_cvt_f32_u32_e32 v5, s7
	s_sub_u32 s2, 0, s6
	s_subb_u32 s5, 0, s7
	v_fmamk_f32 v4, v5, 0x4f800000, v4
	s_delay_alu instid0(VALU_DEP_1) | instskip(SKIP_2) | instid1(VALU_DEP_1)
	v_rcp_f32_e32 v4, v4
	s_waitcnt_depctr 0xfff
	v_mul_f32_e32 v4, 0x5f7ffffc, v4
	v_mul_f32_e32 v5, 0x2f800000, v4
	s_delay_alu instid0(VALU_DEP_1) | instskip(NEXT) | instid1(VALU_DEP_1)
	v_trunc_f32_e32 v5, v5
	v_fmamk_f32 v4, v5, 0xcf800000, v4
	v_cvt_u32_f32_e32 v5, v5
	s_delay_alu instid0(VALU_DEP_2) | instskip(NEXT) | instid1(VALU_DEP_2)
	v_cvt_u32_f32_e32 v4, v4
	v_mul_lo_u32 v14, s2, v5
	s_delay_alu instid0(VALU_DEP_2) | instskip(SKIP_1) | instid1(VALU_DEP_2)
	v_mul_hi_u32 v15, s2, v4
	v_mul_lo_u32 v16, s5, v4
	v_add_nc_u32_e32 v14, v15, v14
	v_mul_lo_u32 v15, s2, v4
	s_delay_alu instid0(VALU_DEP_2) | instskip(NEXT) | instid1(VALU_DEP_2)
	v_add_nc_u32_e32 v14, v14, v16
	v_mul_hi_u32 v16, v4, v15
	s_delay_alu instid0(VALU_DEP_2)
	v_mul_lo_u32 v17, v4, v14
	v_mul_hi_u32 v18, v4, v14
	v_mul_hi_u32 v19, v5, v15
	v_mul_lo_u32 v15, v5, v15
	v_mul_hi_u32 v20, v5, v14
	v_mul_lo_u32 v14, v5, v14
	v_add_co_u32 v16, vcc_lo, v16, v17
	v_add_co_ci_u32_e32 v17, vcc_lo, 0, v18, vcc_lo
	s_delay_alu instid0(VALU_DEP_2) | instskip(NEXT) | instid1(VALU_DEP_2)
	v_add_co_u32 v15, vcc_lo, v16, v15
	v_add_co_ci_u32_e32 v15, vcc_lo, v17, v19, vcc_lo
	v_add_co_ci_u32_e32 v16, vcc_lo, 0, v20, vcc_lo
	v_ashrrev_i32_e32 v19, 31, v11
	s_delay_alu instid0(VALU_DEP_3) | instskip(NEXT) | instid1(VALU_DEP_3)
	v_add_co_u32 v14, vcc_lo, v15, v14
	v_add_co_ci_u32_e32 v15, vcc_lo, 0, v16, vcc_lo
	s_delay_alu instid0(VALU_DEP_2) | instskip(NEXT) | instid1(VALU_DEP_2)
	v_add_co_u32 v4, vcc_lo, v4, v14
	v_add_co_ci_u32_e32 v5, vcc_lo, v5, v15, vcc_lo
	s_delay_alu instid0(VALU_DEP_2) | instskip(SKIP_1) | instid1(VALU_DEP_3)
	v_mul_hi_u32 v14, s2, v4
	v_mul_lo_u32 v16, s5, v4
	v_mul_lo_u32 v15, s2, v5
	s_delay_alu instid0(VALU_DEP_1) | instskip(SKIP_1) | instid1(VALU_DEP_2)
	v_add_nc_u32_e32 v14, v14, v15
	v_mul_lo_u32 v15, s2, v4
	v_add_nc_u32_e32 v14, v14, v16
	s_delay_alu instid0(VALU_DEP_2) | instskip(NEXT) | instid1(VALU_DEP_2)
	v_mul_hi_u32 v16, v4, v15
	v_mul_lo_u32 v17, v4, v14
	v_mul_hi_u32 v18, v4, v14
	v_mul_hi_u32 v20, v5, v15
	v_mul_lo_u32 v15, v5, v15
	v_mul_hi_u32 v21, v5, v14
	v_mul_lo_u32 v14, v5, v14
	v_add_co_u32 v16, vcc_lo, v16, v17
	v_add_co_ci_u32_e32 v17, vcc_lo, 0, v18, vcc_lo
	s_delay_alu instid0(VALU_DEP_2) | instskip(NEXT) | instid1(VALU_DEP_2)
	v_add_co_u32 v15, vcc_lo, v16, v15
	v_add_co_ci_u32_e32 v15, vcc_lo, v17, v20, vcc_lo
	v_add_co_ci_u32_e32 v16, vcc_lo, 0, v21, vcc_lo
	v_add_co_u32 v17, vcc_lo, v10, v19
	v_add_co_ci_u32_e32 v18, vcc_lo, v11, v19, vcc_lo
	s_delay_alu instid0(VALU_DEP_4) | instskip(NEXT) | instid1(VALU_DEP_4)
	v_add_co_u32 v14, vcc_lo, v15, v14
	v_add_co_ci_u32_e32 v15, vcc_lo, 0, v16, vcc_lo
	s_delay_alu instid0(VALU_DEP_4) | instskip(NEXT) | instid1(VALU_DEP_3)
	v_xor_b32_e32 v20, v17, v19
	v_add_co_u32 v16, vcc_lo, v4, v14
	s_delay_alu instid0(VALU_DEP_3) | instskip(SKIP_1) | instid1(VALU_DEP_3)
	v_add_co_ci_u32_e32 v21, vcc_lo, v5, v15, vcc_lo
	v_xor_b32_e32 v18, v18, v19
	v_mul_hi_u32 v22, v20, v16
	s_delay_alu instid0(VALU_DEP_3) | instskip(NEXT) | instid1(VALU_DEP_3)
	v_mad_u64_u32 v[4:5], null, v20, v21, 0
	v_mad_u64_u32 v[14:15], null, v18, v16, 0
	;; [unrolled: 1-line block ×3, first 2 shown]
	s_delay_alu instid0(VALU_DEP_3) | instskip(NEXT) | instid1(VALU_DEP_4)
	v_add_co_u32 v4, vcc_lo, v22, v4
	v_add_co_ci_u32_e32 v5, vcc_lo, 0, v5, vcc_lo
	s_delay_alu instid0(VALU_DEP_2) | instskip(NEXT) | instid1(VALU_DEP_2)
	v_add_co_u32 v4, vcc_lo, v4, v14
	v_add_co_ci_u32_e32 v4, vcc_lo, v5, v15, vcc_lo
	v_add_co_ci_u32_e32 v5, vcc_lo, 0, v17, vcc_lo
	s_delay_alu instid0(VALU_DEP_2) | instskip(NEXT) | instid1(VALU_DEP_2)
	v_add_co_u32 v14, vcc_lo, v4, v16
	v_add_co_ci_u32_e32 v15, vcc_lo, 0, v5, vcc_lo
	s_delay_alu instid0(VALU_DEP_2) | instskip(SKIP_1) | instid1(VALU_DEP_3)
	v_mul_lo_u32 v16, s7, v14
	v_mad_u64_u32 v[4:5], null, s6, v14, 0
	v_mul_lo_u32 v17, s6, v15
	s_delay_alu instid0(VALU_DEP_2) | instskip(NEXT) | instid1(VALU_DEP_2)
	v_sub_co_u32 v4, vcc_lo, v20, v4
	v_add3_u32 v5, v5, v17, v16
	s_delay_alu instid0(VALU_DEP_1) | instskip(NEXT) | instid1(VALU_DEP_1)
	v_sub_nc_u32_e32 v16, v18, v5
	v_subrev_co_ci_u32_e64 v16, s2, s7, v16, vcc_lo
	v_add_co_u32 v17, s2, v14, 2
	s_delay_alu instid0(VALU_DEP_1) | instskip(SKIP_3) | instid1(VALU_DEP_3)
	v_add_co_ci_u32_e64 v20, s2, 0, v15, s2
	v_sub_co_u32 v21, s2, v4, s6
	v_sub_co_ci_u32_e32 v5, vcc_lo, v18, v5, vcc_lo
	v_subrev_co_ci_u32_e64 v16, s2, 0, v16, s2
	v_cmp_le_u32_e32 vcc_lo, s6, v21
	s_delay_alu instid0(VALU_DEP_3) | instskip(SKIP_1) | instid1(VALU_DEP_4)
	v_cmp_eq_u32_e64 s2, s7, v5
	v_cndmask_b32_e64 v18, 0, -1, vcc_lo
	v_cmp_le_u32_e32 vcc_lo, s7, v16
	v_cndmask_b32_e64 v21, 0, -1, vcc_lo
	v_cmp_le_u32_e32 vcc_lo, s6, v4
	;; [unrolled: 2-line block ×3, first 2 shown]
	v_cndmask_b32_e64 v22, 0, -1, vcc_lo
	v_cmp_eq_u32_e32 vcc_lo, s7, v16
	s_delay_alu instid0(VALU_DEP_2) | instskip(SKIP_3) | instid1(VALU_DEP_3)
	v_cndmask_b32_e64 v4, v22, v4, s2
	v_cndmask_b32_e32 v16, v21, v18, vcc_lo
	v_add_co_u32 v18, vcc_lo, v14, 1
	v_add_co_ci_u32_e32 v21, vcc_lo, 0, v15, vcc_lo
	v_cmp_ne_u32_e32 vcc_lo, 0, v16
	s_delay_alu instid0(VALU_DEP_2) | instskip(SKIP_2) | instid1(VALU_DEP_3)
	v_dual_cndmask_b32 v5, v21, v20 :: v_dual_cndmask_b32 v16, v18, v17
	v_cmp_ne_u32_e32 vcc_lo, 0, v4
	v_xor_b32_e32 v17, s4, v19
	v_dual_cndmask_b32 v4, v15, v5 :: v_dual_cndmask_b32 v5, v14, v16
	s_delay_alu instid0(VALU_DEP_1) | instskip(NEXT) | instid1(VALU_DEP_2)
	v_xor_b32_e32 v14, v4, v17
	v_xor_b32_e32 v5, v5, v17
	s_delay_alu instid0(VALU_DEP_1) | instskip(NEXT) | instid1(VALU_DEP_3)
	v_sub_co_u32 v4, vcc_lo, v5, v17
	v_sub_co_ci_u32_e32 v5, vcc_lo, v14, v17, vcc_lo
.LBB0_19:
	s_and_not1_saveexec_b32 s2, s9
	s_cbranch_execz .LBB0_21
; %bb.20:
	v_cvt_f32_u32_e32 v4, s3
	s_sub_i32 s4, 0, s3
	s_delay_alu instid0(VALU_DEP_1) | instskip(SKIP_2) | instid1(VALU_DEP_1)
	v_rcp_iflag_f32_e32 v4, v4
	s_waitcnt_depctr 0xfff
	v_mul_f32_e32 v4, 0x4f7ffffe, v4
	v_cvt_u32_f32_e32 v4, v4
	s_delay_alu instid0(VALU_DEP_1) | instskip(NEXT) | instid1(VALU_DEP_1)
	v_mul_lo_u32 v5, s4, v4
	v_mul_hi_u32 v5, v4, v5
	s_delay_alu instid0(VALU_DEP_1) | instskip(NEXT) | instid1(VALU_DEP_1)
	v_add_nc_u32_e32 v4, v4, v5
	v_mul_hi_u32 v4, v10, v4
	s_delay_alu instid0(VALU_DEP_1) | instskip(SKIP_1) | instid1(VALU_DEP_2)
	v_mul_lo_u32 v5, v4, s3
	v_add_nc_u32_e32 v14, 1, v4
	v_sub_nc_u32_e32 v5, v10, v5
	s_delay_alu instid0(VALU_DEP_1) | instskip(SKIP_1) | instid1(VALU_DEP_2)
	v_subrev_nc_u32_e32 v15, s3, v5
	v_cmp_le_u32_e32 vcc_lo, s3, v5
	v_dual_cndmask_b32 v5, v5, v15 :: v_dual_cndmask_b32 v4, v4, v14
	s_delay_alu instid0(VALU_DEP_1) | instskip(NEXT) | instid1(VALU_DEP_2)
	v_cmp_le_u32_e32 vcc_lo, s3, v5
	v_dual_mov_b32 v5, 0 :: v_dual_add_nc_u32 v14, 1, v4
	s_delay_alu instid0(VALU_DEP_1)
	v_cndmask_b32_e32 v4, v4, v14, vcc_lo
.LBB0_21:
	s_or_b32 exec_lo, exec_lo, s2
	s_delay_alu instid0(VALU_DEP_1) | instskip(NEXT) | instid1(VALU_DEP_2)
	v_mul_lo_u32 v16, s8, v4
	v_mul_lo_u32 v17, s3, v5
	v_mad_u64_u32 v[14:15], null, s3, v4, 0
	s_delay_alu instid0(VALU_DEP_1) | instskip(NEXT) | instid1(VALU_DEP_2)
	v_add3_u32 v15, v15, v17, v16
	v_sub_co_u32 v14, vcc_lo, v10, v14
	v_mov_b32_e32 v10, 0
	s_delay_alu instid0(VALU_DEP_3) | instskip(NEXT) | instid1(VALU_DEP_1)
	v_sub_co_ci_u32_e32 v15, vcc_lo, v11, v15, vcc_lo
	v_or_b32_e32 v11, s41, v15
	s_delay_alu instid0(VALU_DEP_1) | instskip(SKIP_1) | instid1(SALU_CYCLE_1)
	v_cmp_ne_u64_e32 vcc_lo, 0, v[10:11]
                                        ; implicit-def: $vgpr10_vgpr11
	s_and_saveexec_b32 s2, vcc_lo
	s_xor_b32 s3, exec_lo, s2
	s_cbranch_execz .LBB0_23
; %bb.22:
	s_ashr_i32 s4, s41, 31
	s_delay_alu instid0(SALU_CYCLE_1) | instskip(SKIP_2) | instid1(SALU_CYCLE_1)
	s_add_u32 s6, s40, s4
	s_mov_b32 s5, s4
	s_addc_u32 s7, s41, s4
	s_xor_b64 s[6:7], s[6:7], s[4:5]
	s_delay_alu instid0(SALU_CYCLE_1) | instskip(SKIP_3) | instid1(VALU_DEP_1)
	v_cvt_f32_u32_e32 v10, s6
	v_cvt_f32_u32_e32 v11, s7
	s_sub_u32 s2, 0, s6
	s_subb_u32 s5, 0, s7
	v_fmamk_f32 v10, v11, 0x4f800000, v10
	s_delay_alu instid0(VALU_DEP_1) | instskip(SKIP_2) | instid1(VALU_DEP_1)
	v_rcp_f32_e32 v10, v10
	s_waitcnt_depctr 0xfff
	v_mul_f32_e32 v10, 0x5f7ffffc, v10
	v_mul_f32_e32 v11, 0x2f800000, v10
	s_delay_alu instid0(VALU_DEP_1) | instskip(NEXT) | instid1(VALU_DEP_1)
	v_trunc_f32_e32 v11, v11
	v_fmamk_f32 v10, v11, 0xcf800000, v10
	v_cvt_u32_f32_e32 v11, v11
	s_delay_alu instid0(VALU_DEP_2) | instskip(NEXT) | instid1(VALU_DEP_2)
	v_cvt_u32_f32_e32 v10, v10
	v_mul_lo_u32 v16, s2, v11
	s_delay_alu instid0(VALU_DEP_2) | instskip(SKIP_1) | instid1(VALU_DEP_2)
	v_mul_hi_u32 v17, s2, v10
	v_mul_lo_u32 v18, s5, v10
	v_add_nc_u32_e32 v16, v17, v16
	v_mul_lo_u32 v17, s2, v10
	s_delay_alu instid0(VALU_DEP_2) | instskip(NEXT) | instid1(VALU_DEP_2)
	v_add_nc_u32_e32 v16, v16, v18
	v_mul_hi_u32 v18, v10, v17
	s_delay_alu instid0(VALU_DEP_2)
	v_mul_lo_u32 v19, v10, v16
	v_mul_hi_u32 v20, v10, v16
	v_mul_hi_u32 v21, v11, v17
	v_mul_lo_u32 v17, v11, v17
	v_mul_hi_u32 v22, v11, v16
	v_mul_lo_u32 v16, v11, v16
	v_add_co_u32 v18, vcc_lo, v18, v19
	v_add_co_ci_u32_e32 v19, vcc_lo, 0, v20, vcc_lo
	s_delay_alu instid0(VALU_DEP_2) | instskip(NEXT) | instid1(VALU_DEP_2)
	v_add_co_u32 v17, vcc_lo, v18, v17
	v_add_co_ci_u32_e32 v17, vcc_lo, v19, v21, vcc_lo
	v_add_co_ci_u32_e32 v18, vcc_lo, 0, v22, vcc_lo
	v_ashrrev_i32_e32 v21, 31, v15
	s_delay_alu instid0(VALU_DEP_3) | instskip(NEXT) | instid1(VALU_DEP_3)
	v_add_co_u32 v16, vcc_lo, v17, v16
	v_add_co_ci_u32_e32 v17, vcc_lo, 0, v18, vcc_lo
	s_delay_alu instid0(VALU_DEP_2) | instskip(NEXT) | instid1(VALU_DEP_2)
	v_add_co_u32 v10, vcc_lo, v10, v16
	v_add_co_ci_u32_e32 v11, vcc_lo, v11, v17, vcc_lo
	s_delay_alu instid0(VALU_DEP_2) | instskip(SKIP_1) | instid1(VALU_DEP_3)
	v_mul_hi_u32 v16, s2, v10
	v_mul_lo_u32 v18, s5, v10
	v_mul_lo_u32 v17, s2, v11
	s_delay_alu instid0(VALU_DEP_1) | instskip(SKIP_1) | instid1(VALU_DEP_2)
	v_add_nc_u32_e32 v16, v16, v17
	v_mul_lo_u32 v17, s2, v10
	v_add_nc_u32_e32 v16, v16, v18
	s_delay_alu instid0(VALU_DEP_2) | instskip(NEXT) | instid1(VALU_DEP_2)
	v_mul_hi_u32 v18, v10, v17
	v_mul_lo_u32 v19, v10, v16
	v_mul_hi_u32 v20, v10, v16
	v_mul_hi_u32 v22, v11, v17
	v_mul_lo_u32 v17, v11, v17
	v_mul_hi_u32 v23, v11, v16
	v_mul_lo_u32 v16, v11, v16
	v_add_co_u32 v18, vcc_lo, v18, v19
	v_add_co_ci_u32_e32 v19, vcc_lo, 0, v20, vcc_lo
	s_delay_alu instid0(VALU_DEP_2) | instskip(NEXT) | instid1(VALU_DEP_2)
	v_add_co_u32 v17, vcc_lo, v18, v17
	v_add_co_ci_u32_e32 v17, vcc_lo, v19, v22, vcc_lo
	v_add_co_ci_u32_e32 v18, vcc_lo, 0, v23, vcc_lo
	v_add_co_u32 v19, vcc_lo, v14, v21
	v_add_co_ci_u32_e32 v20, vcc_lo, v15, v21, vcc_lo
	s_delay_alu instid0(VALU_DEP_4) | instskip(NEXT) | instid1(VALU_DEP_4)
	v_add_co_u32 v16, vcc_lo, v17, v16
	v_add_co_ci_u32_e32 v17, vcc_lo, 0, v18, vcc_lo
	s_delay_alu instid0(VALU_DEP_4) | instskip(NEXT) | instid1(VALU_DEP_3)
	v_xor_b32_e32 v22, v19, v21
	v_add_co_u32 v18, vcc_lo, v10, v16
	s_delay_alu instid0(VALU_DEP_3) | instskip(SKIP_1) | instid1(VALU_DEP_3)
	v_add_co_ci_u32_e32 v23, vcc_lo, v11, v17, vcc_lo
	v_xor_b32_e32 v20, v20, v21
	v_mul_hi_u32 v24, v22, v18
	s_delay_alu instid0(VALU_DEP_3) | instskip(NEXT) | instid1(VALU_DEP_3)
	v_mad_u64_u32 v[10:11], null, v22, v23, 0
	v_mad_u64_u32 v[16:17], null, v20, v18, 0
	;; [unrolled: 1-line block ×3, first 2 shown]
	s_delay_alu instid0(VALU_DEP_3) | instskip(NEXT) | instid1(VALU_DEP_4)
	v_add_co_u32 v10, vcc_lo, v24, v10
	v_add_co_ci_u32_e32 v11, vcc_lo, 0, v11, vcc_lo
	s_delay_alu instid0(VALU_DEP_2) | instskip(NEXT) | instid1(VALU_DEP_2)
	v_add_co_u32 v10, vcc_lo, v10, v16
	v_add_co_ci_u32_e32 v10, vcc_lo, v11, v17, vcc_lo
	v_add_co_ci_u32_e32 v11, vcc_lo, 0, v19, vcc_lo
	s_delay_alu instid0(VALU_DEP_2) | instskip(NEXT) | instid1(VALU_DEP_2)
	v_add_co_u32 v16, vcc_lo, v10, v18
	v_add_co_ci_u32_e32 v17, vcc_lo, 0, v11, vcc_lo
	s_delay_alu instid0(VALU_DEP_2) | instskip(SKIP_1) | instid1(VALU_DEP_3)
	v_mul_lo_u32 v18, s7, v16
	v_mad_u64_u32 v[10:11], null, s6, v16, 0
	v_mul_lo_u32 v19, s6, v17
	s_delay_alu instid0(VALU_DEP_2) | instskip(NEXT) | instid1(VALU_DEP_2)
	v_sub_co_u32 v10, vcc_lo, v22, v10
	v_add3_u32 v11, v11, v19, v18
	s_delay_alu instid0(VALU_DEP_1) | instskip(NEXT) | instid1(VALU_DEP_1)
	v_sub_nc_u32_e32 v18, v20, v11
	v_subrev_co_ci_u32_e64 v18, s2, s7, v18, vcc_lo
	v_add_co_u32 v19, s2, v16, 2
	s_delay_alu instid0(VALU_DEP_1) | instskip(SKIP_3) | instid1(VALU_DEP_3)
	v_add_co_ci_u32_e64 v22, s2, 0, v17, s2
	v_sub_co_u32 v23, s2, v10, s6
	v_sub_co_ci_u32_e32 v11, vcc_lo, v20, v11, vcc_lo
	v_subrev_co_ci_u32_e64 v18, s2, 0, v18, s2
	v_cmp_le_u32_e32 vcc_lo, s6, v23
	s_delay_alu instid0(VALU_DEP_3) | instskip(SKIP_1) | instid1(VALU_DEP_4)
	v_cmp_eq_u32_e64 s2, s7, v11
	v_cndmask_b32_e64 v20, 0, -1, vcc_lo
	v_cmp_le_u32_e32 vcc_lo, s7, v18
	v_cndmask_b32_e64 v23, 0, -1, vcc_lo
	v_cmp_le_u32_e32 vcc_lo, s6, v10
	;; [unrolled: 2-line block ×3, first 2 shown]
	v_cndmask_b32_e64 v24, 0, -1, vcc_lo
	v_cmp_eq_u32_e32 vcc_lo, s7, v18
	s_delay_alu instid0(VALU_DEP_2) | instskip(SKIP_3) | instid1(VALU_DEP_3)
	v_cndmask_b32_e64 v10, v24, v10, s2
	v_cndmask_b32_e32 v18, v23, v20, vcc_lo
	v_add_co_u32 v20, vcc_lo, v16, 1
	v_add_co_ci_u32_e32 v23, vcc_lo, 0, v17, vcc_lo
	v_cmp_ne_u32_e32 vcc_lo, 0, v18
	s_delay_alu instid0(VALU_DEP_2) | instskip(SKIP_2) | instid1(VALU_DEP_3)
	v_dual_cndmask_b32 v11, v23, v22 :: v_dual_cndmask_b32 v18, v20, v19
	v_cmp_ne_u32_e32 vcc_lo, 0, v10
	v_xor_b32_e32 v19, s4, v21
	v_dual_cndmask_b32 v10, v17, v11 :: v_dual_cndmask_b32 v11, v16, v18
	s_delay_alu instid0(VALU_DEP_1) | instskip(NEXT) | instid1(VALU_DEP_2)
	v_xor_b32_e32 v16, v10, v19
	v_xor_b32_e32 v11, v11, v19
	s_delay_alu instid0(VALU_DEP_1) | instskip(NEXT) | instid1(VALU_DEP_3)
	v_sub_co_u32 v10, vcc_lo, v11, v19
	v_sub_co_ci_u32_e32 v11, vcc_lo, v16, v19, vcc_lo
.LBB0_23:
	s_and_not1_saveexec_b32 s2, s3
	s_cbranch_execz .LBB0_25
; %bb.24:
	v_cvt_f32_u32_e32 v10, s40
	s_sub_i32 s3, 0, s40
	s_delay_alu instid0(VALU_DEP_1) | instskip(SKIP_2) | instid1(VALU_DEP_1)
	v_rcp_iflag_f32_e32 v10, v10
	s_waitcnt_depctr 0xfff
	v_mul_f32_e32 v10, 0x4f7ffffe, v10
	v_cvt_u32_f32_e32 v10, v10
	s_delay_alu instid0(VALU_DEP_1) | instskip(NEXT) | instid1(VALU_DEP_1)
	v_mul_lo_u32 v11, s3, v10
	v_mul_hi_u32 v11, v10, v11
	s_delay_alu instid0(VALU_DEP_1) | instskip(NEXT) | instid1(VALU_DEP_1)
	v_add_nc_u32_e32 v10, v10, v11
	v_mul_hi_u32 v10, v14, v10
	s_delay_alu instid0(VALU_DEP_1) | instskip(SKIP_1) | instid1(VALU_DEP_2)
	v_mul_lo_u32 v11, v10, s40
	v_add_nc_u32_e32 v16, 1, v10
	v_sub_nc_u32_e32 v11, v14, v11
	s_delay_alu instid0(VALU_DEP_1) | instskip(SKIP_1) | instid1(VALU_DEP_2)
	v_subrev_nc_u32_e32 v17, s40, v11
	v_cmp_le_u32_e32 vcc_lo, s40, v11
	v_dual_cndmask_b32 v11, v11, v17 :: v_dual_cndmask_b32 v10, v10, v16
	s_delay_alu instid0(VALU_DEP_1) | instskip(NEXT) | instid1(VALU_DEP_2)
	v_cmp_le_u32_e32 vcc_lo, s40, v11
	v_dual_mov_b32 v11, 0 :: v_dual_add_nc_u32 v16, 1, v10
	s_delay_alu instid0(VALU_DEP_1)
	v_cndmask_b32_e32 v10, v10, v16, vcc_lo
.LBB0_25:
	s_or_b32 exec_lo, exec_lo, s2
	v_mul_lo_u32 v18, v7, s22
	v_mul_lo_u32 v19, v6, s23
	v_mad_u64_u32 v[16:17], null, v6, s22, 0
	v_mul_lo_u32 v7, v7, s30
	v_mul_lo_u32 v3, v3, s36
	s_load_b64 s[0:1], s[0:1], 0x80
	v_mul_lo_u32 v5, v5, s50
	s_delay_alu instid0(VALU_DEP_4) | instskip(SKIP_1) | instid1(VALU_DEP_2)
	v_add3_u32 v17, v17, v19, v18
	v_sub_co_u32 v16, vcc_lo, v12, v16
	v_sub_co_ci_u32_e32 v17, vcc_lo, v13, v17, vcc_lo
	s_delay_alu instid0(VALU_DEP_2) | instskip(SKIP_1) | instid1(VALU_DEP_3)
	v_mul_lo_u32 v18, v16, s29
	v_mad_u64_u32 v[12:13], null, v16, s28, s[16:17]
	v_mul_lo_u32 v16, v17, s28
	s_delay_alu instid0(VALU_DEP_1) | instskip(SKIP_1) | instid1(VALU_DEP_2)
	v_add3_u32 v13, v16, v13, v18
	v_mul_lo_u32 v18, v6, s31
	v_mad_u64_u32 v[16:17], null, v6, s30, v[12:13]
	v_mul_lo_u32 v12, v2, s37
	s_delay_alu instid0(VALU_DEP_2) | instskip(NEXT) | instid1(VALU_DEP_1)
	v_add3_u32 v17, v7, v17, v18
	v_mad_u64_u32 v[6:7], null, v2, s36, v[16:17]
	s_delay_alu instid0(VALU_DEP_1) | instskip(SKIP_2) | instid1(VALU_DEP_3)
	v_add3_u32 v7, v3, v7, v12
	v_mul_lo_u32 v3, v0, s39
	v_mul_lo_u32 v12, v1, s38
	v_mad_u64_u32 v[1:2], null, v0, s38, v[6:7]
	v_mul_lo_u32 v7, v11, s40
	v_mul_lo_u32 v11, v11, s48
	s_delay_alu instid0(VALU_DEP_3)
	v_add3_u32 v2, v12, v2, v3
	v_mul_lo_u32 v12, v10, s41
	s_clause 0x7
	global_load_b128 v[16:19], v[1:2], off
	global_load_b128 v[20:23], v[1:2], off offset:16
	global_load_b128 v[24:27], v[1:2], off offset:32
	;; [unrolled: 1-line block ×7, first 2 shown]
	s_waitcnt vmcnt(7)
	v_max3_f32 v0, |v16|, 0, |v17|
	s_delay_alu instid0(VALU_DEP_1) | instskip(SKIP_1) | instid1(VALU_DEP_1)
	v_max3_f32 v0, v0, |v18|, |v19|
	s_waitcnt vmcnt(6)
	v_max3_f32 v0, v0, |v20|, |v21|
	s_delay_alu instid0(VALU_DEP_1) | instskip(SKIP_1) | instid1(VALU_DEP_1)
	v_max3_f32 v0, v0, |v22|, |v23|
	s_waitcnt vmcnt(5)
	v_max3_f32 v0, v0, |v24|, |v25|
	;; [unrolled: 4-line block ×7, first 2 shown]
	s_delay_alu instid0(VALU_DEP_1) | instskip(NEXT) | instid1(VALU_DEP_1)
	v_max3_f32 v2, v0, |v46|, |v47|
	v_div_scale_f32 v3, null, 0x42fe0000, 0x42fe0000, v2
	v_div_scale_f32 v13, vcc_lo, v2, 0x42fe0000, v2
	s_delay_alu instid0(VALU_DEP_2) | instskip(SKIP_2) | instid1(VALU_DEP_1)
	v_rcp_f32_e32 v6, v3
	s_waitcnt_depctr 0xfff
	v_fma_f32 v0, -v3, v6, 1.0
	v_fmac_f32_e32 v6, v0, v6
	v_mad_u64_u32 v[0:1], null, v10, s40, 0
	s_delay_alu instid0(VALU_DEP_2) | instskip(NEXT) | instid1(VALU_DEP_2)
	v_mul_f32_e32 v48, v13, v6
	v_add3_u32 v1, v1, v12, v7
	s_delay_alu instid0(VALU_DEP_2) | instskip(NEXT) | instid1(VALU_DEP_4)
	v_fma_f32 v7, -v3, v48, v13
	v_sub_co_u32 v0, s2, v14, v0
	s_delay_alu instid0(VALU_DEP_1) | instskip(NEXT) | instid1(VALU_DEP_3)
	v_sub_co_ci_u32_e64 v1, s2, v15, v1, s2
	v_fmac_f32_e32 v48, v7, v6
	s_delay_alu instid0(VALU_DEP_2) | instskip(NEXT) | instid1(VALU_DEP_2)
	v_ashrrev_i32_e32 v7, 31, v1
	v_fma_f32 v3, -v3, v48, v13
	s_delay_alu instid0(VALU_DEP_2) | instskip(NEXT) | instid1(VALU_DEP_2)
	v_lshrrev_b32_e32 v7, 27, v7
	v_div_fmas_f32 v3, v3, v6, v48
	s_delay_alu instid0(VALU_DEP_2) | instskip(NEXT) | instid1(VALU_DEP_2)
	v_add_co_u32 v0, vcc_lo, v0, v7
	v_div_fixup_f32 v12, v3, 0x42fe0000, v2
	v_add_co_ci_u32_e32 v1, vcc_lo, 0, v1, vcc_lo
	s_delay_alu instid0(VALU_DEP_2) | instskip(NEXT) | instid1(VALU_DEP_2)
	v_div_scale_f32 v13, null, v12, v12, 1.0
	v_ashrrev_i64 v[0:1], 5, v[0:1]
	v_div_scale_f32 v15, vcc_lo, 1.0, v12, 1.0
	s_delay_alu instid0(VALU_DEP_3) | instskip(NEXT) | instid1(VALU_DEP_2)
	v_rcp_f32_e32 v14, v13
	v_mul_lo_u32 v3, v0, s47
	s_delay_alu instid0(VALU_DEP_3)
	v_mul_lo_u32 v6, v1, s46
	v_mad_u64_u32 v[1:2], null, v0, s46, s[18:19]
	v_mul_lo_u32 v0, v10, s49
	s_waitcnt_depctr 0xfff
	v_fma_f32 v7, -v13, v14, 1.0
	v_add3_u32 v2, v6, v2, v3
	s_delay_alu instid0(VALU_DEP_2) | instskip(NEXT) | instid1(VALU_DEP_2)
	v_fmac_f32_e32 v14, v7, v14
	v_mad_u64_u32 v[6:7], null, v10, s48, v[1:2]
	s_delay_alu instid0(VALU_DEP_2) | instskip(SKIP_1) | instid1(VALU_DEP_3)
	v_mul_f32_e32 v1, v15, v14
	v_mul_lo_u32 v10, v4, s51
	v_add3_u32 v7, v11, v7, v0
	s_delay_alu instid0(VALU_DEP_3) | instskip(NEXT) | instid1(VALU_DEP_2)
	v_fma_f32 v0, -v13, v1, v15
	v_mad_u64_u32 v[2:3], null, v4, s50, v[6:7]
	s_delay_alu instid0(VALU_DEP_2) | instskip(SKIP_2) | instid1(VALU_DEP_2)
	v_fmac_f32_e32 v1, v0, v14
	s_waitcnt lgkmcnt(0)
	v_mul_lo_u32 v6, v9, s0
	v_fma_f32 v0, -v13, v1, v15
	s_delay_alu instid0(VALU_DEP_4) | instskip(SKIP_1) | instid1(VALU_DEP_3)
	v_add3_u32 v3, v5, v3, v10
	v_mul_lo_u32 v5, v8, s1
	v_div_fmas_f32 v4, v0, v14, v1
	s_delay_alu instid0(VALU_DEP_3) | instskip(SKIP_1) | instid1(VALU_DEP_3)
	v_mad_u64_u32 v[0:1], null, v8, s0, v[2:3]
	v_cmp_neq_f32_e32 vcc_lo, 0, v12
	v_div_fixup_f32 v2, v4, v12, 1.0
	s_delay_alu instid0(VALU_DEP_3) | instskip(NEXT) | instid1(VALU_DEP_2)
	v_add3_u32 v1, v6, v1, v5
	v_cndmask_b32_e32 v3, 0, v2, vcc_lo
	v_cvt_f16_f32_e32 v2, v12
	s_delay_alu instid0(VALU_DEP_2) | instskip(SKIP_2) | instid1(VALU_DEP_3)
	v_mul_f32_e32 v5, v17, v3
	v_mul_f32_e32 v12, v24, v3
	;; [unrolled: 1-line block ×3, first 2 shown]
	v_trunc_f32_e32 v36, v5
	s_delay_alu instid0(VALU_DEP_1)
	v_dual_sub_f32 v68, v5, v36 :: v_dual_mul_f32 v7, v19, v3
	v_mul_f32_e32 v9, v21, v3
	v_mul_f32_e32 v19, v31, v3
	;; [unrolled: 1-line block ×7, first 2 shown]
	v_trunc_f32_e32 v62, v31
	v_mul_f32_e32 v14, v26, v3
	v_mul_f32_e32 v16, v28, v3
	;; [unrolled: 1-line block ×3, first 2 shown]
	v_trunc_f32_e32 v40, v9
	v_mul_f32_e32 v11, v23, v3
	v_trunc_f32_e32 v37, v6
	v_mul_f32_e32 v8, v20, v3
	s_delay_alu instid0(VALU_DEP_4) | instskip(SKIP_3) | instid1(VALU_DEP_2)
	v_sub_f32_e32 v72, v9, v40
	v_mul_f32_e32 v21, v33, v3
	v_mul_f32_e32 v33, v45, v3
	v_sub_f32_e32 v69, v6, v37
	v_trunc_f32_e32 v64, v33
	v_mul_f32_e32 v18, v30, v3
	v_mul_f32_e32 v30, v42, v3
	v_trunc_f32_e32 v42, v11
	v_mul_f32_e32 v20, v32, v3
	v_mul_f32_e32 v32, v44, v3
	v_trunc_f32_e32 v44, v13
	v_mul_f32_e32 v15, v27, v3
	v_sub_f32_e32 v74, v11, v42
	v_trunc_f32_e32 v52, v21
	v_mul_f32_e32 v23, v35, v3
	v_trunc_f32_e32 v35, v4
	v_sub_f32_e32 v76, v13, v44
	s_delay_alu instid0(VALU_DEP_4) | instskip(NEXT) | instid1(VALU_DEP_4)
	v_sub_f32_e32 v84, v21, v52
	v_trunc_f32_e32 v54, v23
	s_delay_alu instid0(VALU_DEP_1) | instskip(NEXT) | instid1(VALU_DEP_1)
	v_dual_sub_f32 v67, v4, v35 :: v_dual_sub_f32 v86, v23, v54
	v_cmp_ge_f32_e64 s0, |v67|, 0.5
	s_delay_alu instid0(VALU_DEP_1) | instskip(SKIP_1) | instid1(VALU_DEP_2)
	v_cndmask_b32_e64 v67, 0, 1.0, s0
	v_cmp_ge_f32_e64 s0, |v68|, 0.5
	v_bfi_b32 v4, 0x7fffffff, v67, v4
	s_delay_alu instid0(VALU_DEP_2) | instskip(SKIP_1) | instid1(VALU_DEP_3)
	v_cndmask_b32_e64 v68, 0, 1.0, s0
	v_cmp_ge_f32_e64 s0, |v69|, 0.5
	v_add_f32_e32 v4, v35, v4
	s_delay_alu instid0(VALU_DEP_3)
	v_bfi_b32 v5, 0x7fffffff, v68, v5
	v_mul_f32_e32 v26, v38, v3
	v_trunc_f32_e32 v38, v7
	v_mul_f32_e32 v17, v29, v3
	v_cndmask_b32_e64 v69, 0, 1.0, s0
	v_add_f32_e32 v5, v36, v5
	v_trunc_f32_e32 v57, v26
	v_sub_f32_e32 v70, v7, v38
	v_trunc_f32_e32 v48, v17
	v_bfi_b32 v6, 0x7fffffff, v69, v6
	v_cvt_i32_f32_e32 v4, v4
	v_sub_f32_e32 v89, v26, v57
	v_cmp_ge_f32_e64 s0, |v70|, 0.5
	v_sub_f32_e32 v80, v17, v48
	v_trunc_f32_e32 v50, v19
	v_mul_f32_e32 v29, v41, v3
	v_add_f32_e32 v6, v37, v6
	v_cndmask_b32_e64 v70, 0, 1.0, s0
	v_trunc_f32_e32 v59, v28
	v_sub_f32_e32 v82, v19, v50
	v_trunc_f32_e32 v60, v29
	v_mul_f32_e32 v10, v22, v3
	v_mul_f32_e32 v22, v34, v3
	;; [unrolled: 1-line block ×3, first 2 shown]
	v_trunc_f32_e32 v46, v15
	v_sub_f32_e32 v67, v29, v60
	v_trunc_f32_e32 v41, v10
	v_bfi_b32 v7, 0x7fffffff, v70, v7
	v_cvt_i32_f32_e32 v5, v5
	v_sub_f32_e32 v78, v15, v46
	v_trunc_f32_e32 v56, v25
	v_mul_f32_e32 v27, v39, v3
	v_trunc_f32_e32 v39, v8
	v_sub_f32_e32 v73, v10, v41
	v_trunc_f32_e32 v43, v12
	v_sub_f32_e32 v88, v25, v56
	;; [unrolled: 2-line block ×3, first 2 shown]
	v_cvt_i32_f32_e32 v6, v6
	v_sub_f32_e32 v75, v12, v43
	v_lshlrev_b16 v5, 8, v5
	v_sub_f32_e32 v90, v27, v58
	v_cmp_ge_f32_e64 s0, |v71|, 0.5
	v_and_b32_e32 v4, 0xff, v4
	v_and_b32_e32 v6, 0xff, v6
	s_delay_alu instid0(VALU_DEP_3) | instskip(SKIP_1) | instid1(VALU_DEP_4)
	v_cndmask_b32_e64 v71, 0, 1.0, s0
	v_cmp_ge_f32_e64 s0, |v72|, 0.5
	v_or_b32_e32 v4, v4, v5
	s_delay_alu instid0(VALU_DEP_3) | instskip(NEXT) | instid1(VALU_DEP_3)
	v_bfi_b32 v8, 0x7fffffff, v71, v8
	v_cndmask_b32_e64 v72, 0, 1.0, s0
	v_cmp_ge_f32_e64 s0, |v73|, 0.5
	v_sub_f32_e32 v71, v33, v64
	v_trunc_f32_e32 v49, v18
	v_add_f32_e32 v8, v39, v8
	v_bfi_b32 v9, 0x7fffffff, v72, v9
	v_cndmask_b32_e64 v73, 0, 1.0, s0
	v_cmp_ge_f32_e64 s0, |v74|, 0.5
	v_sub_f32_e32 v81, v18, v49
	v_trunc_f32_e32 v51, v20
	v_add_f32_e32 v9, v40, v9
	v_trunc_f32_e32 v61, v30
	v_cndmask_b32_e64 v74, 0, 1.0, s0
	v_cmp_ge_f32_e64 s0, |v75|, 0.5
	v_bfi_b32 v10, 0x7fffffff, v73, v10
	s_delay_alu instid0(VALU_DEP_4) | instskip(SKIP_1) | instid1(VALU_DEP_4)
	v_dual_sub_f32 v83, v20, v51 :: v_dual_sub_f32 v68, v30, v61
	v_sub_f32_e32 v69, v31, v62
	v_cndmask_b32_e64 v75, 0, 1.0, s0
	s_delay_alu instid0(VALU_DEP_4)
	v_add_f32_e32 v10, v41, v10
	v_cmp_ge_f32_e64 s0, |v76|, 0.5
	v_trunc_f32_e32 v45, v14
	v_bfi_b32 v11, 0x7fffffff, v74, v11
	v_bfi_b32 v12, 0x7fffffff, v75, v12
	v_cvt_i32_f32_e32 v8, v8
	v_cndmask_b32_e64 v76, 0, 1.0, s0
	v_sub_f32_e32 v77, v14, v45
	v_cvt_i32_f32_e32 v10, v10
	v_add_f32_e32 v12, v43, v12
	v_cvt_i32_f32_e32 v9, v9
	v_bfi_b32 v13, 0x7fffffff, v76, v13
	v_cmp_ge_f32_e64 s0, |v77|, 0.5
	v_and_b32_e32 v8, 0xff, v8
	v_cvt_i32_f32_e32 v12, v12
	v_lshlrev_b16 v9, 8, v9
	v_add_f32_e32 v13, v44, v13
	v_trunc_f32_e32 v65, v34
	v_mul_f32_e32 v3, v47, v3
	v_trunc_f32_e32 v47, v16
	v_cndmask_b32_e64 v77, 0, 1.0, s0
	v_cmp_ge_f32_e64 s0, |v78|, 0.5
	v_sub_f32_e32 v72, v34, v65
	v_trunc_f32_e32 v66, v3
	v_sub_f32_e32 v79, v16, v47
	v_bfi_b32 v14, 0x7fffffff, v77, v14
	v_cndmask_b32_e64 v78, 0, 1.0, s0
	v_sub_f32_e32 v91, v28, v59
	v_sub_f32_e32 v73, v3, v66
	v_cmp_ge_f32_e64 s0, |v79|, 0.5
	v_add_f32_e32 v14, v45, v14
	v_trunc_f32_e32 v53, v22
	v_bfi_b32 v15, 0x7fffffff, v78, v15
	v_cvt_i32_f32_e32 v13, v13
	v_cndmask_b32_e64 v79, 0, 1.0, s0
	v_cmp_ge_f32_e64 s0, |v80|, 0.5
	v_sub_f32_e32 v85, v22, v53
	v_trunc_f32_e32 v55, v24
	v_cvt_i32_f32_e32 v14, v14
	v_bfi_b32 v16, 0x7fffffff, v79, v16
	v_cndmask_b32_e64 v80, 0, 1.0, s0
	v_cmp_ge_f32_e64 s0, |v81|, 0.5
	v_sub_f32_e32 v87, v24, v55
	s_delay_alu instid0(VALU_DEP_4) | instskip(NEXT) | instid1(VALU_DEP_4)
	v_dual_add_f32 v7, v38, v7 :: v_dual_add_f32 v16, v47, v16
	v_bfi_b32 v17, 0x7fffffff, v80, v17
	s_delay_alu instid0(VALU_DEP_4)
	v_cndmask_b32_e64 v81, 0, 1.0, s0
	v_cmp_ge_f32_e64 s0, |v82|, 0.5
	v_lshlrev_b16 v13, 8, v13
	v_cvt_i32_f32_e32 v16, v16
	v_and_b32_e32 v12, 0xff, v12
	v_bfi_b32 v18, 0x7fffffff, v81, v18
	v_cndmask_b32_e64 v82, 0, 1.0, s0
	v_cmp_ge_f32_e64 s0, |v83|, 0.5
	v_dual_add_f32 v11, v42, v11 :: v_dual_and_b32 v16, 0xff, v16
	s_delay_alu instid0(VALU_DEP_4) | instskip(NEXT) | instid1(VALU_DEP_4)
	v_add_f32_e32 v18, v49, v18
	v_bfi_b32 v19, 0x7fffffff, v82, v19
	s_delay_alu instid0(VALU_DEP_4)
	v_cndmask_b32_e64 v83, 0, 1.0, s0
	v_cmp_ge_f32_e64 s0, |v84|, 0.5
	v_and_b32_e32 v14, 0xff, v14
	v_cvt_i32_f32_e32 v18, v18
	v_or_b32_e32 v12, v12, v13
	v_bfi_b32 v20, 0x7fffffff, v83, v20
	v_cndmask_b32_e64 v84, 0, 1.0, s0
	v_cmp_ge_f32_e64 s0, |v85|, 0.5
	v_dual_add_f32 v15, v46, v15 :: v_dual_and_b32 v18, 0xff, v18
	s_delay_alu instid0(VALU_DEP_4) | instskip(NEXT) | instid1(VALU_DEP_4)
	v_add_f32_e32 v20, v51, v20
	v_bfi_b32 v21, 0x7fffffff, v84, v21
	s_delay_alu instid0(VALU_DEP_4)
	v_cndmask_b32_e64 v85, 0, 1.0, s0
	v_cmp_ge_f32_e64 s0, |v86|, 0.5
	v_cvt_i32_f32_e32 v15, v15
	v_cvt_i32_f32_e32 v7, v7
	;; [unrolled: 1-line block ×3, first 2 shown]
	v_bfi_b32 v22, 0x7fffffff, v85, v22
	v_cndmask_b32_e64 v86, 0, 1.0, s0
	v_cmp_ge_f32_e64 s0, |v87|, 0.5
	v_add_f32_e32 v17, v48, v17
	v_lshlrev_b16 v15, 8, v15
	v_add_f32_e32 v22, v53, v22
	v_bfi_b32 v23, 0x7fffffff, v86, v23
	v_cndmask_b32_e64 v87, 0, 1.0, s0
	v_cmp_ge_f32_e64 s0, |v88|, 0.5
	v_cvt_i32_f32_e32 v17, v17
	v_or_b32_e32 v13, v14, v15
	v_cvt_i32_f32_e32 v20, v20
	v_bfi_b32 v24, 0x7fffffff, v87, v24
	v_cndmask_b32_e64 v88, 0, 1.0, s0
	v_cmp_ge_f32_e64 s0, |v89|, 0.5
	v_add_f32_e32 v19, v50, v19
	v_lshlrev_b16 v17, 8, v17
	v_dual_add_f32 v24, v55, v24 :: v_dual_lshlrev_b32 v13, 16, v13
	s_delay_alu instid0(VALU_DEP_4)
	v_cndmask_b32_e64 v89, 0, 1.0, s0
	v_cmp_ge_f32_e64 s0, |v90|, 0.5
	v_cvt_i32_f32_e32 v19, v19
	v_or_b32_e32 v16, v16, v17
	v_bfi_b32 v25, 0x7fffffff, v88, v25
	v_bfi_b32 v26, 0x7fffffff, v89, v26
	v_cndmask_b32_e64 v90, 0, 1.0, s0
	v_cmp_ge_f32_e64 s0, |v91|, 0.5
	v_lshlrev_b16 v19, 8, v19
	s_delay_alu instid0(VALU_DEP_4) | instskip(NEXT) | instid1(VALU_DEP_4)
	v_dual_add_f32 v21, v52, v21 :: v_dual_add_f32 v26, v57, v26
	v_bfi_b32 v27, 0x7fffffff, v90, v27
	s_delay_alu instid0(VALU_DEP_4)
	v_cndmask_b32_e64 v91, 0, 1.0, s0
	v_cmp_ge_f32_e64 s0, |v67|, 0.5
	v_or_b32_e32 v17, v18, v19
	v_cvt_i32_f32_e32 v21, v21
	v_cvt_i32_f32_e32 v22, v22
	v_bfi_b32 v28, 0x7fffffff, v91, v28
	v_cndmask_b32_e64 v67, 0, 1.0, s0
	v_cmp_ge_f32_e64 s0, |v68|, 0.5
	v_lshlrev_b32_e32 v17, 16, v17
	v_trunc_f32_e32 v63, v32
	v_dual_add_f32 v23, v54, v23 :: v_dual_add_f32 v28, v59, v28
	s_delay_alu instid0(VALU_DEP_4) | instskip(SKIP_1) | instid1(VALU_DEP_4)
	v_cndmask_b32_e64 v68, 0, 1.0, s0
	v_cmp_ge_f32_e64 s0, |v69|, 0.5
	v_sub_f32_e32 v70, v32, v63
	v_bfi_b32 v29, 0x7fffffff, v67, v29
	v_cvt_i32_f32_e32 v23, v23
	v_bfi_b32 v30, 0x7fffffff, v68, v30
	v_cndmask_b32_e64 v69, 0, 1.0, s0
	v_cmp_ge_f32_e64 s0, |v70|, 0.5
	v_add_f32_e32 v25, v56, v25
	v_cvt_i32_f32_e32 v24, v24
	v_add_f32_e32 v30, v61, v30
	v_bfi_b32 v31, 0x7fffffff, v69, v31
	v_cndmask_b32_e64 v70, 0, 1.0, s0
	v_cmp_ge_f32_e64 s0, |v71|, 0.5
	v_cvt_i32_f32_e32 v25, v25
	v_cvt_i32_f32_e32 v26, v26
	v_add_f32_e32 v31, v62, v31
	v_bfi_b32 v32, 0x7fffffff, v70, v32
	v_cndmask_b32_e64 v71, 0, 1.0, s0
	v_cmp_ge_f32_e64 s0, |v72|, 0.5
	v_add_f32_e32 v27, v58, v27
	v_cvt_i32_f32_e32 v28, v28
	v_add_f32_e32 v32, v63, v32
	v_bfi_b32 v33, 0x7fffffff, v71, v33
	v_cndmask_b32_e64 v72, 0, 1.0, s0
	v_cmp_ge_f32_e64 s0, |v73|, 0.5
	v_cvt_i32_f32_e32 v27, v27
	v_cvt_i32_f32_e32 v30, v30
	v_add_f32_e32 v33, v64, v33
	v_bfi_b32 v34, 0x7fffffff, v72, v34
	v_cndmask_b32_e64 v73, 0, 1.0, s0
	v_add_f32_e32 v29, v60, v29
	v_cvt_i32_f32_e32 v31, v31
	v_cvt_i32_f32_e32 v32, v32
	v_add_f32_e32 v34, v65, v34
	v_bfi_b32 v3, 0x7fffffff, v73, v3
	v_cvt_i32_f32_e32 v29, v29
	v_cvt_i32_f32_e32 v33, v33
	v_and_b32_e32 v10, 0xff, v10
	v_cvt_i32_f32_e32 v34, v34
	v_add_f32_e32 v3, v66, v3
	v_lshlrev_b16 v11, 8, v11
	v_lshlrev_b16 v7, 8, v7
	;; [unrolled: 1-line block ×3, first 2 shown]
	v_and_b32_e32 v32, 0xff, v32
	v_cvt_i32_f32_e32 v3, v3
	v_and_b32_e32 v34, 0xff, v34
	v_lshlrev_b16 v29, 8, v29
	v_and_b32_e32 v28, 0xff, v28
	v_lshlrev_b16 v31, 8, v31
	v_lshlrev_b16 v3, 8, v3
	v_and_b32_e32 v30, 0xff, v30
	v_lshlrev_b16 v25, 8, v25
	v_and_b32_e32 v24, 0xff, v24
	;; [unrolled: 2-line block ×5, first 2 shown]
	v_or_b32_e32 v8, v8, v9
	v_or_b32_e32 v9, v10, v11
	;; [unrolled: 1-line block ×11, first 2 shown]
	v_and_b32_e32 v16, 0xffff, v16
	v_and_b32_e32 v12, 0xffff, v12
	;; [unrolled: 1-line block ×3, first 2 shown]
	v_lshlrev_b32_e32 v9, 16, v9
	v_and_b32_e32 v19, 0xffff, v4
	v_lshlrev_b32_e32 v20, 16, v5
	v_and_b32_e32 v21, 0xffff, v6
	;; [unrolled: 2-line block ×5, first 2 shown]
	v_lshlrev_b32_e32 v18, 16, v18
	v_or_b32_e32 v6, v16, v17
	v_or_b32_e32 v5, v12, v13
	;; [unrolled: 1-line block ×8, first 2 shown]
	s_clause 0x2
	global_store_b16 v[0:1], v2, off
	global_store_b128 v[0:1], v[3:6], off offset:2
	global_store_b128 v[0:1], v[7:10], off offset:18
.LBB0_26:
	s_nop 0
	s_sendmsg sendmsg(MSG_DEALLOC_VGPRS)
	s_endpgm
	.section	.rodata,"a",@progbits
	.p2align	6, 0x0
	.amdhsa_kernel _ZL9cpy_f32_qIXadL_ZL17cpy_blck_f32_q8_0PKcPcEELi32EEvS1_S2_lllllllllllllll
		.amdhsa_group_segment_fixed_size 0
		.amdhsa_private_segment_fixed_size 0
		.amdhsa_kernarg_size 392
		.amdhsa_user_sgpr_count 15
		.amdhsa_user_sgpr_dispatch_ptr 0
		.amdhsa_user_sgpr_queue_ptr 0
		.amdhsa_user_sgpr_kernarg_segment_ptr 1
		.amdhsa_user_sgpr_dispatch_id 0
		.amdhsa_user_sgpr_private_segment_size 0
		.amdhsa_wavefront_size32 1
		.amdhsa_uses_dynamic_stack 0
		.amdhsa_enable_private_segment 0
		.amdhsa_system_sgpr_workgroup_id_x 1
		.amdhsa_system_sgpr_workgroup_id_y 0
		.amdhsa_system_sgpr_workgroup_id_z 0
		.amdhsa_system_sgpr_workgroup_info 0
		.amdhsa_system_vgpr_workitem_id 0
		.amdhsa_next_free_vgpr 92
		.amdhsa_next_free_sgpr 52
		.amdhsa_reserve_vcc 1
		.amdhsa_float_round_mode_32 0
		.amdhsa_float_round_mode_16_64 0
		.amdhsa_float_denorm_mode_32 3
		.amdhsa_float_denorm_mode_16_64 3
		.amdhsa_dx10_clamp 1
		.amdhsa_ieee_mode 1
		.amdhsa_fp16_overflow 0
		.amdhsa_workgroup_processor_mode 1
		.amdhsa_memory_ordered 1
		.amdhsa_forward_progress 0
		.amdhsa_shared_vgpr_count 0
		.amdhsa_exception_fp_ieee_invalid_op 0
		.amdhsa_exception_fp_denorm_src 0
		.amdhsa_exception_fp_ieee_div_zero 0
		.amdhsa_exception_fp_ieee_overflow 0
		.amdhsa_exception_fp_ieee_underflow 0
		.amdhsa_exception_fp_ieee_inexact 0
		.amdhsa_exception_int_div_zero 0
	.end_amdhsa_kernel
	.section	.text._ZL9cpy_f32_qIXadL_ZL17cpy_blck_f32_q8_0PKcPcEELi32EEvS1_S2_lllllllllllllll,"axG",@progbits,_ZL9cpy_f32_qIXadL_ZL17cpy_blck_f32_q8_0PKcPcEELi32EEvS1_S2_lllllllllllllll,comdat
.Lfunc_end0:
	.size	_ZL9cpy_f32_qIXadL_ZL17cpy_blck_f32_q8_0PKcPcEELi32EEvS1_S2_lllllllllllllll, .Lfunc_end0-_ZL9cpy_f32_qIXadL_ZL17cpy_blck_f32_q8_0PKcPcEELi32EEvS1_S2_lllllllllllllll
                                        ; -- End function
	.section	.AMDGPU.csdata,"",@progbits
; Kernel info:
; codeLenInByte = 9356
; NumSgprs: 54
; NumVgprs: 92
; ScratchSize: 0
; MemoryBound: 0
; FloatMode: 240
; IeeeMode: 1
; LDSByteSize: 0 bytes/workgroup (compile time only)
; SGPRBlocks: 6
; VGPRBlocks: 11
; NumSGPRsForWavesPerEU: 54
; NumVGPRsForWavesPerEU: 92
; Occupancy: 16
; WaveLimiterHint : 0
; COMPUTE_PGM_RSRC2:SCRATCH_EN: 0
; COMPUTE_PGM_RSRC2:USER_SGPR: 15
; COMPUTE_PGM_RSRC2:TRAP_HANDLER: 0
; COMPUTE_PGM_RSRC2:TGID_X_EN: 1
; COMPUTE_PGM_RSRC2:TGID_Y_EN: 0
; COMPUTE_PGM_RSRC2:TGID_Z_EN: 0
; COMPUTE_PGM_RSRC2:TIDIG_COMP_CNT: 0
	.section	.text._ZL9cpy_q_f32IXadL_ZL17cpy_blck_q8_0_f32PKcPcEELi32EEvS1_S2_lllllllllllllll,"axG",@progbits,_ZL9cpy_q_f32IXadL_ZL17cpy_blck_q8_0_f32PKcPcEELi32EEvS1_S2_lllllllllllllll,comdat
	.globl	_ZL9cpy_q_f32IXadL_ZL17cpy_blck_q8_0_f32PKcPcEELi32EEvS1_S2_lllllllllllllll ; -- Begin function _ZL9cpy_q_f32IXadL_ZL17cpy_blck_q8_0_f32PKcPcEELi32EEvS1_S2_lllllllllllllll
	.p2align	8
	.type	_ZL9cpy_q_f32IXadL_ZL17cpy_blck_q8_0_f32PKcPcEELi32EEvS1_S2_lllllllllllllll,@function
_ZL9cpy_q_f32IXadL_ZL17cpy_blck_q8_0_f32PKcPcEELi32EEvS1_S2_lllllllllllllll: ; @_ZL9cpy_q_f32IXadL_ZL17cpy_blck_q8_0_f32PKcPcEELi32EEvS1_S2_lllllllllllllll
; %bb.0:
	s_load_b32 s2, s[0:1], 0x94
	v_mov_b32_e32 v2, 0
	s_load_b512 s[16:31], s[0:1], 0x0
	s_delay_alu instid0(VALU_DEP_1)
	v_mov_b32_e32 v1, v2
	s_waitcnt lgkmcnt(0)
	s_and_b32 s2, s2, 0xffff
	s_delay_alu instid0(VALU_DEP_1) | instid1(SALU_CYCLE_1)
	v_mad_u64_u32 v[3:4], null, s2, s15, v[0:1]
	s_mov_b32 s2, exec_lo
	s_delay_alu instid0(VALU_DEP_1) | instskip(NEXT) | instid1(VALU_DEP_1)
	v_lshlrev_b64 v[4:5], 5, v[3:4]
	v_cmpx_gt_i64_e64 s[20:21], v[4:5]
	s_cbranch_execz .LBB1_26
; %bb.1:
	s_mul_i32 s2, s24, s23
	s_mul_hi_u32 s3, s24, s22
                                        ; implicit-def: $vgpr0_vgpr1
	s_delay_alu instid0(SALU_CYCLE_1)
	s_add_i32 s8, s3, s2
	s_mul_i32 s3, s24, s22
	s_mul_i32 s2, s25, s22
	;; [unrolled: 1-line block ×3, first 2 shown]
	s_mul_hi_u32 s5, s3, s26
	s_add_i32 s8, s8, s2
	s_add_i32 s2, s5, s4
	s_mul_i32 s4, s8, s26
	s_mul_i32 s10, s3, s26
	s_add_i32 s9, s2, s4
	s_mov_b32 s2, exec_lo
	v_or_b32_e32 v3, s9, v5
	s_delay_alu instid0(VALU_DEP_1)
	v_cmpx_ne_u64_e32 0, v[2:3]
	s_xor_b32 s11, exec_lo, s2
	s_cbranch_execz .LBB1_3
; %bb.2:
	s_ashr_i32 s4, s9, 31
	s_delay_alu instid0(SALU_CYCLE_1) | instskip(SKIP_2) | instid1(SALU_CYCLE_1)
	s_add_u32 s6, s10, s4
	s_mov_b32 s5, s4
	s_addc_u32 s7, s9, s4
	s_xor_b64 s[6:7], s[6:7], s[4:5]
	s_delay_alu instid0(SALU_CYCLE_1) | instskip(SKIP_3) | instid1(VALU_DEP_1)
	v_cvt_f32_u32_e32 v0, s6
	v_cvt_f32_u32_e32 v1, s7
	s_sub_u32 s2, 0, s6
	s_subb_u32 s5, 0, s7
	v_fmamk_f32 v0, v1, 0x4f800000, v0
	s_delay_alu instid0(VALU_DEP_1) | instskip(SKIP_2) | instid1(VALU_DEP_1)
	v_rcp_f32_e32 v0, v0
	s_waitcnt_depctr 0xfff
	v_mul_f32_e32 v0, 0x5f7ffffc, v0
	v_mul_f32_e32 v1, 0x2f800000, v0
	s_delay_alu instid0(VALU_DEP_1) | instskip(NEXT) | instid1(VALU_DEP_1)
	v_trunc_f32_e32 v1, v1
	v_fmamk_f32 v0, v1, 0xcf800000, v0
	v_cvt_u32_f32_e32 v1, v1
	s_delay_alu instid0(VALU_DEP_2) | instskip(NEXT) | instid1(VALU_DEP_2)
	v_cvt_u32_f32_e32 v0, v0
	v_mul_lo_u32 v2, s2, v1
	s_delay_alu instid0(VALU_DEP_2) | instskip(SKIP_1) | instid1(VALU_DEP_2)
	v_mul_hi_u32 v3, s2, v0
	v_mul_lo_u32 v6, s5, v0
	v_add_nc_u32_e32 v2, v3, v2
	v_mul_lo_u32 v3, s2, v0
	s_delay_alu instid0(VALU_DEP_2) | instskip(NEXT) | instid1(VALU_DEP_2)
	v_add_nc_u32_e32 v2, v2, v6
	v_mul_hi_u32 v6, v0, v3
	s_delay_alu instid0(VALU_DEP_2)
	v_mul_lo_u32 v7, v0, v2
	v_mul_hi_u32 v8, v0, v2
	v_mul_hi_u32 v9, v1, v3
	v_mul_lo_u32 v3, v1, v3
	v_mul_hi_u32 v10, v1, v2
	v_mul_lo_u32 v2, v1, v2
	v_add_co_u32 v6, vcc_lo, v6, v7
	v_add_co_ci_u32_e32 v7, vcc_lo, 0, v8, vcc_lo
	s_delay_alu instid0(VALU_DEP_2) | instskip(NEXT) | instid1(VALU_DEP_2)
	v_add_co_u32 v3, vcc_lo, v6, v3
	v_add_co_ci_u32_e32 v3, vcc_lo, v7, v9, vcc_lo
	v_add_co_ci_u32_e32 v6, vcc_lo, 0, v10, vcc_lo
	s_delay_alu instid0(VALU_DEP_2) | instskip(NEXT) | instid1(VALU_DEP_2)
	v_add_co_u32 v2, vcc_lo, v3, v2
	v_add_co_ci_u32_e32 v3, vcc_lo, 0, v6, vcc_lo
	s_delay_alu instid0(VALU_DEP_2) | instskip(NEXT) | instid1(VALU_DEP_2)
	v_add_co_u32 v0, vcc_lo, v0, v2
	v_add_co_ci_u32_e32 v1, vcc_lo, v1, v3, vcc_lo
	s_delay_alu instid0(VALU_DEP_2) | instskip(SKIP_1) | instid1(VALU_DEP_3)
	v_mul_hi_u32 v2, s2, v0
	v_mul_lo_u32 v6, s5, v0
	v_mul_lo_u32 v3, s2, v1
	s_delay_alu instid0(VALU_DEP_1) | instskip(SKIP_1) | instid1(VALU_DEP_2)
	v_add_nc_u32_e32 v2, v2, v3
	v_mul_lo_u32 v3, s2, v0
	v_add_nc_u32_e32 v2, v2, v6
	s_delay_alu instid0(VALU_DEP_2) | instskip(NEXT) | instid1(VALU_DEP_2)
	v_mul_hi_u32 v6, v0, v3
	v_mul_lo_u32 v7, v0, v2
	v_mul_hi_u32 v8, v0, v2
	v_mul_hi_u32 v9, v1, v3
	v_mul_lo_u32 v3, v1, v3
	v_mul_hi_u32 v10, v1, v2
	v_mul_lo_u32 v2, v1, v2
	v_add_co_u32 v6, vcc_lo, v6, v7
	v_add_co_ci_u32_e32 v7, vcc_lo, 0, v8, vcc_lo
	s_delay_alu instid0(VALU_DEP_2) | instskip(NEXT) | instid1(VALU_DEP_2)
	v_add_co_u32 v3, vcc_lo, v6, v3
	v_add_co_ci_u32_e32 v3, vcc_lo, v7, v9, vcc_lo
	v_add_co_ci_u32_e32 v6, vcc_lo, 0, v10, vcc_lo
	s_delay_alu instid0(VALU_DEP_2) | instskip(NEXT) | instid1(VALU_DEP_2)
	v_add_co_u32 v2, vcc_lo, v3, v2
	v_add_co_ci_u32_e32 v3, vcc_lo, 0, v6, vcc_lo
	s_delay_alu instid0(VALU_DEP_2) | instskip(NEXT) | instid1(VALU_DEP_2)
	v_add_co_u32 v6, vcc_lo, v0, v2
	v_add_co_ci_u32_e32 v8, vcc_lo, v1, v3, vcc_lo
	s_delay_alu instid0(VALU_DEP_2) | instskip(SKIP_1) | instid1(VALU_DEP_3)
	v_mul_hi_u32 v9, v4, v6
	v_mad_u64_u32 v[2:3], null, v5, v6, 0
	v_mad_u64_u32 v[0:1], null, v4, v8, 0
	;; [unrolled: 1-line block ×3, first 2 shown]
	s_delay_alu instid0(VALU_DEP_2) | instskip(NEXT) | instid1(VALU_DEP_3)
	v_add_co_u32 v0, vcc_lo, v9, v0
	v_add_co_ci_u32_e32 v1, vcc_lo, 0, v1, vcc_lo
	s_delay_alu instid0(VALU_DEP_2) | instskip(NEXT) | instid1(VALU_DEP_2)
	v_add_co_u32 v0, vcc_lo, v0, v2
	v_add_co_ci_u32_e32 v0, vcc_lo, v1, v3, vcc_lo
	v_add_co_ci_u32_e32 v1, vcc_lo, 0, v7, vcc_lo
	s_delay_alu instid0(VALU_DEP_2) | instskip(NEXT) | instid1(VALU_DEP_2)
	v_add_co_u32 v2, vcc_lo, v0, v6
	v_add_co_ci_u32_e32 v3, vcc_lo, 0, v1, vcc_lo
	s_delay_alu instid0(VALU_DEP_2) | instskip(SKIP_1) | instid1(VALU_DEP_3)
	v_mul_lo_u32 v6, s7, v2
	v_mad_u64_u32 v[0:1], null, s6, v2, 0
	v_mul_lo_u32 v7, s6, v3
	s_delay_alu instid0(VALU_DEP_2) | instskip(NEXT) | instid1(VALU_DEP_2)
	v_sub_co_u32 v0, vcc_lo, v4, v0
	v_add3_u32 v1, v1, v7, v6
	s_delay_alu instid0(VALU_DEP_1) | instskip(NEXT) | instid1(VALU_DEP_1)
	v_sub_nc_u32_e32 v6, v5, v1
	v_subrev_co_ci_u32_e64 v6, s2, s7, v6, vcc_lo
	v_add_co_u32 v7, s2, v2, 2
	s_delay_alu instid0(VALU_DEP_1) | instskip(SKIP_3) | instid1(VALU_DEP_3)
	v_add_co_ci_u32_e64 v8, s2, 0, v3, s2
	v_sub_co_u32 v9, s2, v0, s6
	v_sub_co_ci_u32_e32 v1, vcc_lo, v5, v1, vcc_lo
	v_subrev_co_ci_u32_e64 v6, s2, 0, v6, s2
	v_cmp_le_u32_e32 vcc_lo, s6, v9
	s_delay_alu instid0(VALU_DEP_3) | instskip(SKIP_1) | instid1(VALU_DEP_4)
	v_cmp_eq_u32_e64 s2, s7, v1
	v_cndmask_b32_e64 v9, 0, -1, vcc_lo
	v_cmp_le_u32_e32 vcc_lo, s7, v6
	v_cndmask_b32_e64 v10, 0, -1, vcc_lo
	v_cmp_le_u32_e32 vcc_lo, s6, v0
	;; [unrolled: 2-line block ×3, first 2 shown]
	v_cndmask_b32_e64 v11, 0, -1, vcc_lo
	v_cmp_eq_u32_e32 vcc_lo, s7, v6
	s_delay_alu instid0(VALU_DEP_2) | instskip(SKIP_3) | instid1(VALU_DEP_3)
	v_cndmask_b32_e64 v0, v11, v0, s2
	v_cndmask_b32_e32 v6, v10, v9, vcc_lo
	v_add_co_u32 v9, vcc_lo, v2, 1
	v_add_co_ci_u32_e32 v10, vcc_lo, 0, v3, vcc_lo
	v_cmp_ne_u32_e32 vcc_lo, 0, v6
	s_delay_alu instid0(VALU_DEP_2) | instskip(SKIP_1) | instid1(VALU_DEP_2)
	v_dual_cndmask_b32 v1, v10, v8 :: v_dual_cndmask_b32 v6, v9, v7
	v_cmp_ne_u32_e32 vcc_lo, 0, v0
	v_dual_cndmask_b32 v0, v3, v1 :: v_dual_cndmask_b32 v1, v2, v6
	s_delay_alu instid0(VALU_DEP_1) | instskip(NEXT) | instid1(VALU_DEP_2)
	v_xor_b32_e32 v2, s4, v0
	v_xor_b32_e32 v1, s4, v1
	s_delay_alu instid0(VALU_DEP_1) | instskip(NEXT) | instid1(VALU_DEP_3)
	v_sub_co_u32 v0, vcc_lo, v1, s4
	v_subrev_co_ci_u32_e32 v1, vcc_lo, s4, v2, vcc_lo
.LBB1_3:
	s_and_not1_saveexec_b32 s2, s11
	s_cbranch_execz .LBB1_5
; %bb.4:
	v_cvt_f32_u32_e32 v0, s10
	s_sub_i32 s4, 0, s10
	s_delay_alu instid0(VALU_DEP_1) | instskip(SKIP_2) | instid1(VALU_DEP_1)
	v_rcp_iflag_f32_e32 v0, v0
	s_waitcnt_depctr 0xfff
	v_mul_f32_e32 v0, 0x4f7ffffe, v0
	v_cvt_u32_f32_e32 v0, v0
	s_delay_alu instid0(VALU_DEP_1) | instskip(NEXT) | instid1(VALU_DEP_1)
	v_mul_lo_u32 v1, s4, v0
	v_mul_hi_u32 v1, v0, v1
	s_delay_alu instid0(VALU_DEP_1) | instskip(NEXT) | instid1(VALU_DEP_1)
	v_add_nc_u32_e32 v0, v0, v1
	v_mul_hi_u32 v0, v4, v0
	s_delay_alu instid0(VALU_DEP_1) | instskip(SKIP_1) | instid1(VALU_DEP_2)
	v_mul_lo_u32 v1, v0, s10
	v_add_nc_u32_e32 v2, 1, v0
	v_sub_nc_u32_e32 v1, v4, v1
	s_delay_alu instid0(VALU_DEP_1) | instskip(SKIP_1) | instid1(VALU_DEP_2)
	v_subrev_nc_u32_e32 v3, s10, v1
	v_cmp_le_u32_e32 vcc_lo, s10, v1
	v_dual_cndmask_b32 v1, v1, v3 :: v_dual_cndmask_b32 v0, v0, v2
	s_delay_alu instid0(VALU_DEP_1) | instskip(NEXT) | instid1(VALU_DEP_2)
	v_cmp_le_u32_e32 vcc_lo, s10, v1
	v_dual_mov_b32 v1, 0 :: v_dual_add_nc_u32 v2, 1, v0
	s_delay_alu instid0(VALU_DEP_1)
	v_cndmask_b32_e32 v0, v0, v2, vcc_lo
.LBB1_5:
	s_or_b32 exec_lo, exec_lo, s2
	s_delay_alu instid0(VALU_DEP_1) | instskip(NEXT) | instid1(VALU_DEP_2)
	v_mul_lo_u32 v6, s9, v0
	v_mul_lo_u32 v7, s10, v1
	v_mad_u64_u32 v[2:3], null, s10, v0, 0
	s_delay_alu instid0(VALU_DEP_1) | instskip(NEXT) | instid1(VALU_DEP_2)
	v_add3_u32 v3, v3, v7, v6
	v_sub_co_u32 v6, vcc_lo, v4, v2
	v_mov_b32_e32 v2, 0
	s_delay_alu instid0(VALU_DEP_3) | instskip(NEXT) | instid1(VALU_DEP_1)
	v_sub_co_ci_u32_e32 v7, vcc_lo, v5, v3, vcc_lo
	v_or_b32_e32 v3, s8, v7
	s_delay_alu instid0(VALU_DEP_1) | instskip(SKIP_1) | instid1(SALU_CYCLE_1)
	v_cmp_ne_u64_e32 vcc_lo, 0, v[2:3]
                                        ; implicit-def: $vgpr2_vgpr3
	s_and_saveexec_b32 s2, vcc_lo
	s_xor_b32 s9, exec_lo, s2
	s_cbranch_execz .LBB1_7
; %bb.6:
	s_ashr_i32 s4, s8, 31
	s_delay_alu instid0(SALU_CYCLE_1) | instskip(SKIP_2) | instid1(SALU_CYCLE_1)
	s_add_u32 s6, s3, s4
	s_mov_b32 s5, s4
	s_addc_u32 s7, s8, s4
	s_xor_b64 s[6:7], s[6:7], s[4:5]
	s_delay_alu instid0(SALU_CYCLE_1) | instskip(SKIP_3) | instid1(VALU_DEP_1)
	v_cvt_f32_u32_e32 v2, s6
	v_cvt_f32_u32_e32 v3, s7
	s_sub_u32 s2, 0, s6
	s_subb_u32 s5, 0, s7
	v_fmamk_f32 v2, v3, 0x4f800000, v2
	s_delay_alu instid0(VALU_DEP_1) | instskip(SKIP_2) | instid1(VALU_DEP_1)
	v_rcp_f32_e32 v2, v2
	s_waitcnt_depctr 0xfff
	v_mul_f32_e32 v2, 0x5f7ffffc, v2
	v_mul_f32_e32 v3, 0x2f800000, v2
	s_delay_alu instid0(VALU_DEP_1) | instskip(NEXT) | instid1(VALU_DEP_1)
	v_trunc_f32_e32 v3, v3
	v_fmamk_f32 v2, v3, 0xcf800000, v2
	v_cvt_u32_f32_e32 v3, v3
	s_delay_alu instid0(VALU_DEP_2) | instskip(NEXT) | instid1(VALU_DEP_2)
	v_cvt_u32_f32_e32 v2, v2
	v_mul_lo_u32 v8, s2, v3
	s_delay_alu instid0(VALU_DEP_2) | instskip(SKIP_1) | instid1(VALU_DEP_2)
	v_mul_hi_u32 v9, s2, v2
	v_mul_lo_u32 v10, s5, v2
	v_add_nc_u32_e32 v8, v9, v8
	v_mul_lo_u32 v9, s2, v2
	s_delay_alu instid0(VALU_DEP_2) | instskip(NEXT) | instid1(VALU_DEP_2)
	v_add_nc_u32_e32 v8, v8, v10
	v_mul_hi_u32 v10, v2, v9
	s_delay_alu instid0(VALU_DEP_2)
	v_mul_lo_u32 v11, v2, v8
	v_mul_hi_u32 v12, v2, v8
	v_mul_hi_u32 v13, v3, v9
	v_mul_lo_u32 v9, v3, v9
	v_mul_hi_u32 v14, v3, v8
	v_mul_lo_u32 v8, v3, v8
	v_add_co_u32 v10, vcc_lo, v10, v11
	v_add_co_ci_u32_e32 v11, vcc_lo, 0, v12, vcc_lo
	s_delay_alu instid0(VALU_DEP_2) | instskip(NEXT) | instid1(VALU_DEP_2)
	v_add_co_u32 v9, vcc_lo, v10, v9
	v_add_co_ci_u32_e32 v9, vcc_lo, v11, v13, vcc_lo
	v_add_co_ci_u32_e32 v10, vcc_lo, 0, v14, vcc_lo
	v_ashrrev_i32_e32 v13, 31, v7
	s_delay_alu instid0(VALU_DEP_3) | instskip(NEXT) | instid1(VALU_DEP_3)
	v_add_co_u32 v8, vcc_lo, v9, v8
	v_add_co_ci_u32_e32 v9, vcc_lo, 0, v10, vcc_lo
	s_delay_alu instid0(VALU_DEP_2) | instskip(NEXT) | instid1(VALU_DEP_2)
	v_add_co_u32 v2, vcc_lo, v2, v8
	v_add_co_ci_u32_e32 v3, vcc_lo, v3, v9, vcc_lo
	s_delay_alu instid0(VALU_DEP_2) | instskip(SKIP_1) | instid1(VALU_DEP_3)
	v_mul_hi_u32 v8, s2, v2
	v_mul_lo_u32 v10, s5, v2
	v_mul_lo_u32 v9, s2, v3
	s_delay_alu instid0(VALU_DEP_1) | instskip(SKIP_1) | instid1(VALU_DEP_2)
	v_add_nc_u32_e32 v8, v8, v9
	v_mul_lo_u32 v9, s2, v2
	v_add_nc_u32_e32 v8, v8, v10
	s_delay_alu instid0(VALU_DEP_2) | instskip(NEXT) | instid1(VALU_DEP_2)
	v_mul_hi_u32 v10, v2, v9
	v_mul_lo_u32 v11, v2, v8
	v_mul_hi_u32 v12, v2, v8
	v_mul_hi_u32 v14, v3, v9
	v_mul_lo_u32 v9, v3, v9
	v_mul_hi_u32 v15, v3, v8
	v_mul_lo_u32 v8, v3, v8
	v_add_co_u32 v10, vcc_lo, v10, v11
	v_add_co_ci_u32_e32 v11, vcc_lo, 0, v12, vcc_lo
	s_delay_alu instid0(VALU_DEP_2) | instskip(NEXT) | instid1(VALU_DEP_2)
	v_add_co_u32 v9, vcc_lo, v10, v9
	v_add_co_ci_u32_e32 v9, vcc_lo, v11, v14, vcc_lo
	v_add_co_ci_u32_e32 v10, vcc_lo, 0, v15, vcc_lo
	v_add_co_u32 v11, vcc_lo, v6, v13
	v_add_co_ci_u32_e32 v12, vcc_lo, v7, v13, vcc_lo
	s_delay_alu instid0(VALU_DEP_4) | instskip(NEXT) | instid1(VALU_DEP_4)
	v_add_co_u32 v8, vcc_lo, v9, v8
	v_add_co_ci_u32_e32 v9, vcc_lo, 0, v10, vcc_lo
	s_delay_alu instid0(VALU_DEP_4) | instskip(NEXT) | instid1(VALU_DEP_3)
	v_xor_b32_e32 v14, v11, v13
	v_add_co_u32 v10, vcc_lo, v2, v8
	s_delay_alu instid0(VALU_DEP_3) | instskip(SKIP_1) | instid1(VALU_DEP_3)
	v_add_co_ci_u32_e32 v15, vcc_lo, v3, v9, vcc_lo
	v_xor_b32_e32 v12, v12, v13
	v_mul_hi_u32 v16, v14, v10
	s_delay_alu instid0(VALU_DEP_3) | instskip(NEXT) | instid1(VALU_DEP_3)
	v_mad_u64_u32 v[2:3], null, v14, v15, 0
	v_mad_u64_u32 v[8:9], null, v12, v10, 0
	;; [unrolled: 1-line block ×3, first 2 shown]
	s_delay_alu instid0(VALU_DEP_3) | instskip(NEXT) | instid1(VALU_DEP_4)
	v_add_co_u32 v2, vcc_lo, v16, v2
	v_add_co_ci_u32_e32 v3, vcc_lo, 0, v3, vcc_lo
	s_delay_alu instid0(VALU_DEP_2) | instskip(NEXT) | instid1(VALU_DEP_2)
	v_add_co_u32 v2, vcc_lo, v2, v8
	v_add_co_ci_u32_e32 v2, vcc_lo, v3, v9, vcc_lo
	v_add_co_ci_u32_e32 v3, vcc_lo, 0, v11, vcc_lo
	s_delay_alu instid0(VALU_DEP_2) | instskip(NEXT) | instid1(VALU_DEP_2)
	v_add_co_u32 v8, vcc_lo, v2, v10
	v_add_co_ci_u32_e32 v9, vcc_lo, 0, v3, vcc_lo
	s_delay_alu instid0(VALU_DEP_2) | instskip(SKIP_1) | instid1(VALU_DEP_3)
	v_mul_lo_u32 v10, s7, v8
	v_mad_u64_u32 v[2:3], null, s6, v8, 0
	v_mul_lo_u32 v11, s6, v9
	s_delay_alu instid0(VALU_DEP_2) | instskip(NEXT) | instid1(VALU_DEP_2)
	v_sub_co_u32 v2, vcc_lo, v14, v2
	v_add3_u32 v3, v3, v11, v10
	s_delay_alu instid0(VALU_DEP_1) | instskip(NEXT) | instid1(VALU_DEP_1)
	v_sub_nc_u32_e32 v10, v12, v3
	v_subrev_co_ci_u32_e64 v10, s2, s7, v10, vcc_lo
	v_add_co_u32 v11, s2, v8, 2
	s_delay_alu instid0(VALU_DEP_1) | instskip(SKIP_3) | instid1(VALU_DEP_3)
	v_add_co_ci_u32_e64 v14, s2, 0, v9, s2
	v_sub_co_u32 v15, s2, v2, s6
	v_sub_co_ci_u32_e32 v3, vcc_lo, v12, v3, vcc_lo
	v_subrev_co_ci_u32_e64 v10, s2, 0, v10, s2
	v_cmp_le_u32_e32 vcc_lo, s6, v15
	s_delay_alu instid0(VALU_DEP_3) | instskip(SKIP_1) | instid1(VALU_DEP_4)
	v_cmp_eq_u32_e64 s2, s7, v3
	v_cndmask_b32_e64 v12, 0, -1, vcc_lo
	v_cmp_le_u32_e32 vcc_lo, s7, v10
	v_cndmask_b32_e64 v15, 0, -1, vcc_lo
	v_cmp_le_u32_e32 vcc_lo, s6, v2
	;; [unrolled: 2-line block ×3, first 2 shown]
	v_cndmask_b32_e64 v16, 0, -1, vcc_lo
	v_cmp_eq_u32_e32 vcc_lo, s7, v10
	s_delay_alu instid0(VALU_DEP_2) | instskip(SKIP_3) | instid1(VALU_DEP_3)
	v_cndmask_b32_e64 v2, v16, v2, s2
	v_cndmask_b32_e32 v10, v15, v12, vcc_lo
	v_add_co_u32 v12, vcc_lo, v8, 1
	v_add_co_ci_u32_e32 v15, vcc_lo, 0, v9, vcc_lo
	v_cmp_ne_u32_e32 vcc_lo, 0, v10
	s_delay_alu instid0(VALU_DEP_2) | instskip(SKIP_2) | instid1(VALU_DEP_3)
	v_dual_cndmask_b32 v3, v15, v14 :: v_dual_cndmask_b32 v10, v12, v11
	v_cmp_ne_u32_e32 vcc_lo, 0, v2
	v_xor_b32_e32 v11, s4, v13
	v_dual_cndmask_b32 v2, v9, v3 :: v_dual_cndmask_b32 v3, v8, v10
	s_delay_alu instid0(VALU_DEP_1) | instskip(NEXT) | instid1(VALU_DEP_2)
	v_xor_b32_e32 v8, v2, v11
	v_xor_b32_e32 v3, v3, v11
	s_delay_alu instid0(VALU_DEP_1) | instskip(NEXT) | instid1(VALU_DEP_3)
	v_sub_co_u32 v2, vcc_lo, v3, v11
	v_sub_co_ci_u32_e32 v3, vcc_lo, v8, v11, vcc_lo
.LBB1_7:
	s_and_not1_saveexec_b32 s2, s9
	s_cbranch_execz .LBB1_9
; %bb.8:
	v_cvt_f32_u32_e32 v2, s3
	s_sub_i32 s4, 0, s3
	s_delay_alu instid0(VALU_DEP_1) | instskip(SKIP_2) | instid1(VALU_DEP_1)
	v_rcp_iflag_f32_e32 v2, v2
	s_waitcnt_depctr 0xfff
	v_mul_f32_e32 v2, 0x4f7ffffe, v2
	v_cvt_u32_f32_e32 v2, v2
	s_delay_alu instid0(VALU_DEP_1) | instskip(NEXT) | instid1(VALU_DEP_1)
	v_mul_lo_u32 v3, s4, v2
	v_mul_hi_u32 v3, v2, v3
	s_delay_alu instid0(VALU_DEP_1) | instskip(NEXT) | instid1(VALU_DEP_1)
	v_add_nc_u32_e32 v2, v2, v3
	v_mul_hi_u32 v2, v6, v2
	s_delay_alu instid0(VALU_DEP_1) | instskip(SKIP_1) | instid1(VALU_DEP_2)
	v_mul_lo_u32 v3, v2, s3
	v_add_nc_u32_e32 v8, 1, v2
	v_sub_nc_u32_e32 v3, v6, v3
	s_delay_alu instid0(VALU_DEP_1) | instskip(SKIP_1) | instid1(VALU_DEP_2)
	v_subrev_nc_u32_e32 v9, s3, v3
	v_cmp_le_u32_e32 vcc_lo, s3, v3
	v_dual_cndmask_b32 v3, v3, v9 :: v_dual_cndmask_b32 v2, v2, v8
	s_delay_alu instid0(VALU_DEP_1) | instskip(NEXT) | instid1(VALU_DEP_2)
	v_cmp_le_u32_e32 vcc_lo, s3, v3
	v_dual_mov_b32 v3, 0 :: v_dual_add_nc_u32 v8, 1, v2
	s_delay_alu instid0(VALU_DEP_1)
	v_cndmask_b32_e32 v2, v2, v8, vcc_lo
.LBB1_9:
	s_or_b32 exec_lo, exec_lo, s2
	s_delay_alu instid0(VALU_DEP_1) | instskip(NEXT) | instid1(VALU_DEP_2)
	v_mul_lo_u32 v10, s8, v2
	v_mul_lo_u32 v11, s3, v3
	v_mad_u64_u32 v[8:9], null, s3, v2, 0
	s_delay_alu instid0(VALU_DEP_1) | instskip(NEXT) | instid1(VALU_DEP_2)
	v_add3_u32 v9, v9, v11, v10
	v_sub_co_u32 v12, vcc_lo, v6, v8
	v_mov_b32_e32 v6, 0
	s_delay_alu instid0(VALU_DEP_3) | instskip(NEXT) | instid1(VALU_DEP_1)
	v_sub_co_ci_u32_e32 v13, vcc_lo, v7, v9, vcc_lo
	v_or_b32_e32 v7, s23, v13
	s_delay_alu instid0(VALU_DEP_1) | instskip(SKIP_1) | instid1(SALU_CYCLE_1)
	v_cmp_ne_u64_e32 vcc_lo, 0, v[6:7]
                                        ; implicit-def: $vgpr6_vgpr7
	s_and_saveexec_b32 s2, vcc_lo
	s_xor_b32 s3, exec_lo, s2
	s_cbranch_execz .LBB1_11
; %bb.10:
	s_ashr_i32 s4, s23, 31
	s_delay_alu instid0(SALU_CYCLE_1) | instskip(SKIP_2) | instid1(SALU_CYCLE_1)
	s_add_u32 s6, s22, s4
	s_mov_b32 s5, s4
	s_addc_u32 s7, s23, s4
	s_xor_b64 s[6:7], s[6:7], s[4:5]
	s_delay_alu instid0(SALU_CYCLE_1) | instskip(SKIP_3) | instid1(VALU_DEP_1)
	v_cvt_f32_u32_e32 v6, s6
	v_cvt_f32_u32_e32 v7, s7
	s_sub_u32 s2, 0, s6
	s_subb_u32 s5, 0, s7
	v_fmamk_f32 v6, v7, 0x4f800000, v6
	s_delay_alu instid0(VALU_DEP_1) | instskip(SKIP_2) | instid1(VALU_DEP_1)
	v_rcp_f32_e32 v6, v6
	s_waitcnt_depctr 0xfff
	v_mul_f32_e32 v6, 0x5f7ffffc, v6
	v_mul_f32_e32 v7, 0x2f800000, v6
	s_delay_alu instid0(VALU_DEP_1) | instskip(NEXT) | instid1(VALU_DEP_1)
	v_trunc_f32_e32 v7, v7
	v_fmamk_f32 v6, v7, 0xcf800000, v6
	v_cvt_u32_f32_e32 v7, v7
	s_delay_alu instid0(VALU_DEP_2) | instskip(NEXT) | instid1(VALU_DEP_2)
	v_cvt_u32_f32_e32 v6, v6
	v_mul_lo_u32 v8, s2, v7
	s_delay_alu instid0(VALU_DEP_2) | instskip(SKIP_1) | instid1(VALU_DEP_2)
	v_mul_hi_u32 v9, s2, v6
	v_mul_lo_u32 v10, s5, v6
	v_add_nc_u32_e32 v8, v9, v8
	v_mul_lo_u32 v9, s2, v6
	s_delay_alu instid0(VALU_DEP_2) | instskip(NEXT) | instid1(VALU_DEP_2)
	v_add_nc_u32_e32 v8, v8, v10
	v_mul_hi_u32 v10, v6, v9
	s_delay_alu instid0(VALU_DEP_2)
	v_mul_lo_u32 v11, v6, v8
	v_mul_hi_u32 v14, v6, v8
	v_mul_hi_u32 v15, v7, v9
	v_mul_lo_u32 v9, v7, v9
	v_mul_hi_u32 v16, v7, v8
	v_mul_lo_u32 v8, v7, v8
	v_add_co_u32 v10, vcc_lo, v10, v11
	v_add_co_ci_u32_e32 v11, vcc_lo, 0, v14, vcc_lo
	s_delay_alu instid0(VALU_DEP_2) | instskip(NEXT) | instid1(VALU_DEP_2)
	v_add_co_u32 v9, vcc_lo, v10, v9
	v_add_co_ci_u32_e32 v9, vcc_lo, v11, v15, vcc_lo
	v_add_co_ci_u32_e32 v10, vcc_lo, 0, v16, vcc_lo
	v_ashrrev_i32_e32 v15, 31, v13
	s_delay_alu instid0(VALU_DEP_3) | instskip(NEXT) | instid1(VALU_DEP_3)
	v_add_co_u32 v8, vcc_lo, v9, v8
	v_add_co_ci_u32_e32 v9, vcc_lo, 0, v10, vcc_lo
	s_delay_alu instid0(VALU_DEP_2) | instskip(NEXT) | instid1(VALU_DEP_2)
	v_add_co_u32 v6, vcc_lo, v6, v8
	v_add_co_ci_u32_e32 v7, vcc_lo, v7, v9, vcc_lo
	s_delay_alu instid0(VALU_DEP_2) | instskip(SKIP_1) | instid1(VALU_DEP_3)
	v_mul_hi_u32 v8, s2, v6
	v_mul_lo_u32 v10, s5, v6
	v_mul_lo_u32 v9, s2, v7
	s_delay_alu instid0(VALU_DEP_1) | instskip(SKIP_1) | instid1(VALU_DEP_2)
	v_add_nc_u32_e32 v8, v8, v9
	v_mul_lo_u32 v9, s2, v6
	v_add_nc_u32_e32 v8, v8, v10
	s_delay_alu instid0(VALU_DEP_2) | instskip(NEXT) | instid1(VALU_DEP_2)
	v_mul_hi_u32 v10, v6, v9
	v_mul_lo_u32 v11, v6, v8
	v_mul_hi_u32 v14, v6, v8
	v_mul_hi_u32 v16, v7, v9
	v_mul_lo_u32 v9, v7, v9
	v_mul_hi_u32 v17, v7, v8
	v_mul_lo_u32 v8, v7, v8
	v_add_co_u32 v10, vcc_lo, v10, v11
	v_add_co_ci_u32_e32 v11, vcc_lo, 0, v14, vcc_lo
	s_delay_alu instid0(VALU_DEP_2) | instskip(NEXT) | instid1(VALU_DEP_2)
	v_add_co_u32 v9, vcc_lo, v10, v9
	v_add_co_ci_u32_e32 v9, vcc_lo, v11, v16, vcc_lo
	v_add_co_ci_u32_e32 v10, vcc_lo, 0, v17, vcc_lo
	v_add_co_u32 v11, vcc_lo, v12, v15
	v_add_co_ci_u32_e32 v14, vcc_lo, v13, v15, vcc_lo
	s_delay_alu instid0(VALU_DEP_4) | instskip(NEXT) | instid1(VALU_DEP_4)
	v_add_co_u32 v8, vcc_lo, v9, v8
	v_add_co_ci_u32_e32 v9, vcc_lo, 0, v10, vcc_lo
	s_delay_alu instid0(VALU_DEP_4) | instskip(NEXT) | instid1(VALU_DEP_3)
	v_xor_b32_e32 v16, v11, v15
	v_add_co_u32 v10, vcc_lo, v6, v8
	s_delay_alu instid0(VALU_DEP_3) | instskip(SKIP_1) | instid1(VALU_DEP_3)
	v_add_co_ci_u32_e32 v17, vcc_lo, v7, v9, vcc_lo
	v_xor_b32_e32 v14, v14, v15
	v_mul_hi_u32 v18, v16, v10
	s_delay_alu instid0(VALU_DEP_3) | instskip(NEXT) | instid1(VALU_DEP_3)
	v_mad_u64_u32 v[6:7], null, v16, v17, 0
	v_mad_u64_u32 v[8:9], null, v14, v10, 0
	;; [unrolled: 1-line block ×3, first 2 shown]
	s_delay_alu instid0(VALU_DEP_3) | instskip(NEXT) | instid1(VALU_DEP_4)
	v_add_co_u32 v6, vcc_lo, v18, v6
	v_add_co_ci_u32_e32 v7, vcc_lo, 0, v7, vcc_lo
	s_delay_alu instid0(VALU_DEP_2) | instskip(NEXT) | instid1(VALU_DEP_2)
	v_add_co_u32 v6, vcc_lo, v6, v8
	v_add_co_ci_u32_e32 v6, vcc_lo, v7, v9, vcc_lo
	v_add_co_ci_u32_e32 v7, vcc_lo, 0, v11, vcc_lo
	s_delay_alu instid0(VALU_DEP_2) | instskip(NEXT) | instid1(VALU_DEP_2)
	v_add_co_u32 v8, vcc_lo, v6, v10
	v_add_co_ci_u32_e32 v9, vcc_lo, 0, v7, vcc_lo
	s_delay_alu instid0(VALU_DEP_2) | instskip(SKIP_1) | instid1(VALU_DEP_3)
	v_mul_lo_u32 v10, s7, v8
	v_mad_u64_u32 v[6:7], null, s6, v8, 0
	v_mul_lo_u32 v11, s6, v9
	s_delay_alu instid0(VALU_DEP_2) | instskip(NEXT) | instid1(VALU_DEP_2)
	v_sub_co_u32 v6, vcc_lo, v16, v6
	v_add3_u32 v7, v7, v11, v10
	s_delay_alu instid0(VALU_DEP_1) | instskip(NEXT) | instid1(VALU_DEP_1)
	v_sub_nc_u32_e32 v10, v14, v7
	v_subrev_co_ci_u32_e64 v10, s2, s7, v10, vcc_lo
	v_add_co_u32 v11, s2, v8, 2
	s_delay_alu instid0(VALU_DEP_1) | instskip(SKIP_3) | instid1(VALU_DEP_3)
	v_add_co_ci_u32_e64 v16, s2, 0, v9, s2
	v_sub_co_u32 v17, s2, v6, s6
	v_sub_co_ci_u32_e32 v7, vcc_lo, v14, v7, vcc_lo
	v_subrev_co_ci_u32_e64 v10, s2, 0, v10, s2
	v_cmp_le_u32_e32 vcc_lo, s6, v17
	s_delay_alu instid0(VALU_DEP_3) | instskip(SKIP_1) | instid1(VALU_DEP_4)
	v_cmp_eq_u32_e64 s2, s7, v7
	v_cndmask_b32_e64 v14, 0, -1, vcc_lo
	v_cmp_le_u32_e32 vcc_lo, s7, v10
	v_cndmask_b32_e64 v17, 0, -1, vcc_lo
	v_cmp_le_u32_e32 vcc_lo, s6, v6
	;; [unrolled: 2-line block ×3, first 2 shown]
	v_cndmask_b32_e64 v18, 0, -1, vcc_lo
	v_cmp_eq_u32_e32 vcc_lo, s7, v10
	s_delay_alu instid0(VALU_DEP_2) | instskip(SKIP_3) | instid1(VALU_DEP_3)
	v_cndmask_b32_e64 v6, v18, v6, s2
	v_cndmask_b32_e32 v10, v17, v14, vcc_lo
	v_add_co_u32 v14, vcc_lo, v8, 1
	v_add_co_ci_u32_e32 v17, vcc_lo, 0, v9, vcc_lo
	v_cmp_ne_u32_e32 vcc_lo, 0, v10
	s_delay_alu instid0(VALU_DEP_2) | instskip(SKIP_2) | instid1(VALU_DEP_3)
	v_dual_cndmask_b32 v7, v17, v16 :: v_dual_cndmask_b32 v10, v14, v11
	v_cmp_ne_u32_e32 vcc_lo, 0, v6
	v_xor_b32_e32 v11, s4, v15
	v_dual_cndmask_b32 v6, v9, v7 :: v_dual_cndmask_b32 v7, v8, v10
	s_delay_alu instid0(VALU_DEP_1) | instskip(NEXT) | instid1(VALU_DEP_2)
	v_xor_b32_e32 v8, v6, v11
	v_xor_b32_e32 v7, v7, v11
	s_delay_alu instid0(VALU_DEP_1) | instskip(NEXT) | instid1(VALU_DEP_3)
	v_sub_co_u32 v6, vcc_lo, v7, v11
	v_sub_co_ci_u32_e32 v7, vcc_lo, v8, v11, vcc_lo
.LBB1_11:
	s_and_not1_saveexec_b32 s2, s3
	s_cbranch_execz .LBB1_13
; %bb.12:
	v_cvt_f32_u32_e32 v6, s22
	s_sub_i32 s3, 0, s22
	s_delay_alu instid0(VALU_DEP_1) | instskip(SKIP_2) | instid1(VALU_DEP_1)
	v_rcp_iflag_f32_e32 v6, v6
	s_waitcnt_depctr 0xfff
	v_mul_f32_e32 v6, 0x4f7ffffe, v6
	v_cvt_u32_f32_e32 v6, v6
	s_delay_alu instid0(VALU_DEP_1) | instskip(NEXT) | instid1(VALU_DEP_1)
	v_mul_lo_u32 v7, s3, v6
	v_mul_hi_u32 v7, v6, v7
	s_delay_alu instid0(VALU_DEP_1) | instskip(NEXT) | instid1(VALU_DEP_1)
	v_add_nc_u32_e32 v6, v6, v7
	v_mul_hi_u32 v6, v12, v6
	s_delay_alu instid0(VALU_DEP_1) | instskip(SKIP_1) | instid1(VALU_DEP_2)
	v_mul_lo_u32 v7, v6, s22
	v_add_nc_u32_e32 v8, 1, v6
	v_sub_nc_u32_e32 v7, v12, v7
	s_delay_alu instid0(VALU_DEP_1) | instskip(SKIP_1) | instid1(VALU_DEP_2)
	v_subrev_nc_u32_e32 v9, s22, v7
	v_cmp_le_u32_e32 vcc_lo, s22, v7
	v_dual_cndmask_b32 v7, v7, v9 :: v_dual_cndmask_b32 v6, v6, v8
	s_delay_alu instid0(VALU_DEP_1) | instskip(NEXT) | instid1(VALU_DEP_2)
	v_cmp_le_u32_e32 vcc_lo, s22, v7
	v_dual_mov_b32 v7, 0 :: v_dual_add_nc_u32 v8, 1, v6
	s_delay_alu instid0(VALU_DEP_1)
	v_cndmask_b32_e32 v6, v6, v8, vcc_lo
.LBB1_13:
	s_or_b32 exec_lo, exec_lo, s2
	s_load_b512 s[36:51], s[0:1], 0x40
	v_mov_b32_e32 v8, 0
	s_waitcnt lgkmcnt(0)
	s_mul_i32 s2, s42, s41
	s_mul_hi_u32 s4, s42, s40
	s_mul_i32 s5, s43, s40
	s_mul_i32 s3, s42, s40
	s_add_i32 s8, s4, s2
	s_mul_i32 s2, s3, s45
	s_mul_hi_u32 s4, s3, s44
	s_add_i32 s8, s8, s5
	s_add_i32 s2, s4, s2
	s_mul_i32 s4, s8, s44
	s_mul_i32 s10, s3, s44
	s_add_i32 s9, s2, s4
	s_delay_alu instid0(SALU_CYCLE_1) | instskip(NEXT) | instid1(VALU_DEP_1)
	v_or_b32_e32 v9, s9, v5
	v_cmp_ne_u64_e32 vcc_lo, 0, v[8:9]
                                        ; implicit-def: $vgpr8_vgpr9
	s_and_saveexec_b32 s2, vcc_lo
	s_delay_alu instid0(SALU_CYCLE_1)
	s_xor_b32 s11, exec_lo, s2
	s_cbranch_execz .LBB1_15
; %bb.14:
	s_ashr_i32 s4, s9, 31
	s_delay_alu instid0(SALU_CYCLE_1) | instskip(SKIP_2) | instid1(SALU_CYCLE_1)
	s_add_u32 s6, s10, s4
	s_mov_b32 s5, s4
	s_addc_u32 s7, s9, s4
	s_xor_b64 s[6:7], s[6:7], s[4:5]
	s_delay_alu instid0(SALU_CYCLE_1) | instskip(SKIP_3) | instid1(VALU_DEP_1)
	v_cvt_f32_u32_e32 v8, s6
	v_cvt_f32_u32_e32 v9, s7
	s_sub_u32 s2, 0, s6
	s_subb_u32 s5, 0, s7
	v_fmamk_f32 v8, v9, 0x4f800000, v8
	s_delay_alu instid0(VALU_DEP_1) | instskip(SKIP_2) | instid1(VALU_DEP_1)
	v_rcp_f32_e32 v8, v8
	s_waitcnt_depctr 0xfff
	v_mul_f32_e32 v8, 0x5f7ffffc, v8
	v_mul_f32_e32 v9, 0x2f800000, v8
	s_delay_alu instid0(VALU_DEP_1) | instskip(NEXT) | instid1(VALU_DEP_1)
	v_trunc_f32_e32 v9, v9
	v_fmamk_f32 v8, v9, 0xcf800000, v8
	v_cvt_u32_f32_e32 v9, v9
	s_delay_alu instid0(VALU_DEP_2) | instskip(NEXT) | instid1(VALU_DEP_2)
	v_cvt_u32_f32_e32 v8, v8
	v_mul_lo_u32 v10, s2, v9
	s_delay_alu instid0(VALU_DEP_2) | instskip(SKIP_1) | instid1(VALU_DEP_2)
	v_mul_hi_u32 v11, s2, v8
	v_mul_lo_u32 v14, s5, v8
	v_add_nc_u32_e32 v10, v11, v10
	v_mul_lo_u32 v11, s2, v8
	s_delay_alu instid0(VALU_DEP_2) | instskip(NEXT) | instid1(VALU_DEP_2)
	v_add_nc_u32_e32 v10, v10, v14
	v_mul_hi_u32 v14, v8, v11
	s_delay_alu instid0(VALU_DEP_2)
	v_mul_lo_u32 v15, v8, v10
	v_mul_hi_u32 v16, v8, v10
	v_mul_hi_u32 v17, v9, v11
	v_mul_lo_u32 v11, v9, v11
	v_mul_hi_u32 v18, v9, v10
	v_mul_lo_u32 v10, v9, v10
	v_add_co_u32 v14, vcc_lo, v14, v15
	v_add_co_ci_u32_e32 v15, vcc_lo, 0, v16, vcc_lo
	s_delay_alu instid0(VALU_DEP_2) | instskip(NEXT) | instid1(VALU_DEP_2)
	v_add_co_u32 v11, vcc_lo, v14, v11
	v_add_co_ci_u32_e32 v11, vcc_lo, v15, v17, vcc_lo
	v_add_co_ci_u32_e32 v14, vcc_lo, 0, v18, vcc_lo
	s_delay_alu instid0(VALU_DEP_2) | instskip(NEXT) | instid1(VALU_DEP_2)
	v_add_co_u32 v10, vcc_lo, v11, v10
	v_add_co_ci_u32_e32 v11, vcc_lo, 0, v14, vcc_lo
	s_delay_alu instid0(VALU_DEP_2) | instskip(NEXT) | instid1(VALU_DEP_2)
	v_add_co_u32 v8, vcc_lo, v8, v10
	v_add_co_ci_u32_e32 v9, vcc_lo, v9, v11, vcc_lo
	s_delay_alu instid0(VALU_DEP_2) | instskip(SKIP_1) | instid1(VALU_DEP_3)
	v_mul_hi_u32 v10, s2, v8
	v_mul_lo_u32 v14, s5, v8
	v_mul_lo_u32 v11, s2, v9
	s_delay_alu instid0(VALU_DEP_1) | instskip(SKIP_1) | instid1(VALU_DEP_2)
	v_add_nc_u32_e32 v10, v10, v11
	v_mul_lo_u32 v11, s2, v8
	v_add_nc_u32_e32 v10, v10, v14
	s_delay_alu instid0(VALU_DEP_2) | instskip(NEXT) | instid1(VALU_DEP_2)
	v_mul_hi_u32 v14, v8, v11
	v_mul_lo_u32 v15, v8, v10
	v_mul_hi_u32 v16, v8, v10
	v_mul_hi_u32 v17, v9, v11
	v_mul_lo_u32 v11, v9, v11
	v_mul_hi_u32 v18, v9, v10
	v_mul_lo_u32 v10, v9, v10
	v_add_co_u32 v14, vcc_lo, v14, v15
	v_add_co_ci_u32_e32 v15, vcc_lo, 0, v16, vcc_lo
	s_delay_alu instid0(VALU_DEP_2) | instskip(NEXT) | instid1(VALU_DEP_2)
	v_add_co_u32 v11, vcc_lo, v14, v11
	v_add_co_ci_u32_e32 v11, vcc_lo, v15, v17, vcc_lo
	v_add_co_ci_u32_e32 v14, vcc_lo, 0, v18, vcc_lo
	s_delay_alu instid0(VALU_DEP_2) | instskip(NEXT) | instid1(VALU_DEP_2)
	v_add_co_u32 v10, vcc_lo, v11, v10
	v_add_co_ci_u32_e32 v11, vcc_lo, 0, v14, vcc_lo
	s_delay_alu instid0(VALU_DEP_2) | instskip(NEXT) | instid1(VALU_DEP_2)
	v_add_co_u32 v14, vcc_lo, v8, v10
	v_add_co_ci_u32_e32 v16, vcc_lo, v9, v11, vcc_lo
	s_delay_alu instid0(VALU_DEP_2) | instskip(SKIP_1) | instid1(VALU_DEP_3)
	v_mul_hi_u32 v17, v4, v14
	v_mad_u64_u32 v[10:11], null, v5, v14, 0
	v_mad_u64_u32 v[8:9], null, v4, v16, 0
	;; [unrolled: 1-line block ×3, first 2 shown]
	s_delay_alu instid0(VALU_DEP_2) | instskip(NEXT) | instid1(VALU_DEP_3)
	v_add_co_u32 v8, vcc_lo, v17, v8
	v_add_co_ci_u32_e32 v9, vcc_lo, 0, v9, vcc_lo
	s_delay_alu instid0(VALU_DEP_2) | instskip(NEXT) | instid1(VALU_DEP_2)
	v_add_co_u32 v8, vcc_lo, v8, v10
	v_add_co_ci_u32_e32 v8, vcc_lo, v9, v11, vcc_lo
	v_add_co_ci_u32_e32 v9, vcc_lo, 0, v15, vcc_lo
	s_delay_alu instid0(VALU_DEP_2) | instskip(NEXT) | instid1(VALU_DEP_2)
	v_add_co_u32 v10, vcc_lo, v8, v14
	v_add_co_ci_u32_e32 v11, vcc_lo, 0, v9, vcc_lo
	s_delay_alu instid0(VALU_DEP_2) | instskip(SKIP_1) | instid1(VALU_DEP_3)
	v_mul_lo_u32 v14, s7, v10
	v_mad_u64_u32 v[8:9], null, s6, v10, 0
	v_mul_lo_u32 v15, s6, v11
	s_delay_alu instid0(VALU_DEP_2) | instskip(NEXT) | instid1(VALU_DEP_2)
	v_sub_co_u32 v8, vcc_lo, v4, v8
	v_add3_u32 v9, v9, v15, v14
	s_delay_alu instid0(VALU_DEP_1) | instskip(NEXT) | instid1(VALU_DEP_1)
	v_sub_nc_u32_e32 v14, v5, v9
	v_subrev_co_ci_u32_e64 v14, s2, s7, v14, vcc_lo
	v_add_co_u32 v15, s2, v10, 2
	s_delay_alu instid0(VALU_DEP_1) | instskip(SKIP_3) | instid1(VALU_DEP_3)
	v_add_co_ci_u32_e64 v16, s2, 0, v11, s2
	v_sub_co_u32 v17, s2, v8, s6
	v_sub_co_ci_u32_e32 v9, vcc_lo, v5, v9, vcc_lo
	v_subrev_co_ci_u32_e64 v14, s2, 0, v14, s2
	v_cmp_le_u32_e32 vcc_lo, s6, v17
	s_delay_alu instid0(VALU_DEP_3) | instskip(SKIP_1) | instid1(VALU_DEP_4)
	v_cmp_eq_u32_e64 s2, s7, v9
	v_cndmask_b32_e64 v17, 0, -1, vcc_lo
	v_cmp_le_u32_e32 vcc_lo, s7, v14
	v_cndmask_b32_e64 v18, 0, -1, vcc_lo
	v_cmp_le_u32_e32 vcc_lo, s6, v8
	;; [unrolled: 2-line block ×3, first 2 shown]
	v_cndmask_b32_e64 v19, 0, -1, vcc_lo
	v_cmp_eq_u32_e32 vcc_lo, s7, v14
	s_delay_alu instid0(VALU_DEP_2) | instskip(SKIP_3) | instid1(VALU_DEP_3)
	v_cndmask_b32_e64 v8, v19, v8, s2
	v_cndmask_b32_e32 v14, v18, v17, vcc_lo
	v_add_co_u32 v17, vcc_lo, v10, 1
	v_add_co_ci_u32_e32 v18, vcc_lo, 0, v11, vcc_lo
	v_cmp_ne_u32_e32 vcc_lo, 0, v14
	s_delay_alu instid0(VALU_DEP_2) | instskip(SKIP_1) | instid1(VALU_DEP_2)
	v_dual_cndmask_b32 v9, v18, v16 :: v_dual_cndmask_b32 v14, v17, v15
	v_cmp_ne_u32_e32 vcc_lo, 0, v8
	v_dual_cndmask_b32 v8, v11, v9 :: v_dual_cndmask_b32 v9, v10, v14
	s_delay_alu instid0(VALU_DEP_1) | instskip(NEXT) | instid1(VALU_DEP_2)
	v_xor_b32_e32 v10, s4, v8
	v_xor_b32_e32 v9, s4, v9
	s_delay_alu instid0(VALU_DEP_1) | instskip(NEXT) | instid1(VALU_DEP_3)
	v_sub_co_u32 v8, vcc_lo, v9, s4
	v_subrev_co_ci_u32_e32 v9, vcc_lo, s4, v10, vcc_lo
.LBB1_15:
	s_and_not1_saveexec_b32 s2, s11
	s_cbranch_execz .LBB1_17
; %bb.16:
	v_cvt_f32_u32_e32 v8, s10
	s_sub_i32 s4, 0, s10
	s_delay_alu instid0(VALU_DEP_1) | instskip(SKIP_2) | instid1(VALU_DEP_1)
	v_rcp_iflag_f32_e32 v8, v8
	s_waitcnt_depctr 0xfff
	v_mul_f32_e32 v8, 0x4f7ffffe, v8
	v_cvt_u32_f32_e32 v8, v8
	s_delay_alu instid0(VALU_DEP_1) | instskip(NEXT) | instid1(VALU_DEP_1)
	v_mul_lo_u32 v9, s4, v8
	v_mul_hi_u32 v9, v8, v9
	s_delay_alu instid0(VALU_DEP_1) | instskip(NEXT) | instid1(VALU_DEP_1)
	v_add_nc_u32_e32 v8, v8, v9
	v_mul_hi_u32 v8, v4, v8
	s_delay_alu instid0(VALU_DEP_1) | instskip(SKIP_1) | instid1(VALU_DEP_2)
	v_mul_lo_u32 v9, v8, s10
	v_add_nc_u32_e32 v10, 1, v8
	v_sub_nc_u32_e32 v9, v4, v9
	s_delay_alu instid0(VALU_DEP_1) | instskip(SKIP_1) | instid1(VALU_DEP_2)
	v_subrev_nc_u32_e32 v11, s10, v9
	v_cmp_le_u32_e32 vcc_lo, s10, v9
	v_dual_cndmask_b32 v9, v9, v11 :: v_dual_cndmask_b32 v8, v8, v10
	s_delay_alu instid0(VALU_DEP_1) | instskip(NEXT) | instid1(VALU_DEP_2)
	v_cmp_le_u32_e32 vcc_lo, s10, v9
	v_dual_mov_b32 v9, 0 :: v_dual_add_nc_u32 v10, 1, v8
	s_delay_alu instid0(VALU_DEP_1)
	v_cndmask_b32_e32 v8, v8, v10, vcc_lo
.LBB1_17:
	s_or_b32 exec_lo, exec_lo, s2
	s_delay_alu instid0(VALU_DEP_1) | instskip(NEXT) | instid1(VALU_DEP_2)
	v_mul_lo_u32 v14, s9, v8
	v_mul_lo_u32 v15, s10, v9
	v_mad_u64_u32 v[10:11], null, s10, v8, 0
	s_delay_alu instid0(VALU_DEP_1) | instskip(NEXT) | instid1(VALU_DEP_2)
	v_add3_u32 v11, v11, v15, v14
	v_sub_co_u32 v10, vcc_lo, v4, v10
	v_mov_b32_e32 v4, 0
	s_delay_alu instid0(VALU_DEP_3) | instskip(NEXT) | instid1(VALU_DEP_1)
	v_sub_co_ci_u32_e32 v11, vcc_lo, v5, v11, vcc_lo
	v_or_b32_e32 v5, s8, v11
	s_delay_alu instid0(VALU_DEP_1) | instskip(SKIP_1) | instid1(SALU_CYCLE_1)
	v_cmp_ne_u64_e32 vcc_lo, 0, v[4:5]
                                        ; implicit-def: $vgpr4_vgpr5
	s_and_saveexec_b32 s2, vcc_lo
	s_xor_b32 s9, exec_lo, s2
	s_cbranch_execz .LBB1_19
; %bb.18:
	s_ashr_i32 s4, s8, 31
	s_delay_alu instid0(SALU_CYCLE_1) | instskip(SKIP_2) | instid1(SALU_CYCLE_1)
	s_add_u32 s6, s3, s4
	s_mov_b32 s5, s4
	s_addc_u32 s7, s8, s4
	s_xor_b64 s[6:7], s[6:7], s[4:5]
	s_delay_alu instid0(SALU_CYCLE_1) | instskip(SKIP_3) | instid1(VALU_DEP_1)
	v_cvt_f32_u32_e32 v4, s6
	v_cvt_f32_u32_e32 v5, s7
	s_sub_u32 s2, 0, s6
	s_subb_u32 s5, 0, s7
	v_fmamk_f32 v4, v5, 0x4f800000, v4
	s_delay_alu instid0(VALU_DEP_1) | instskip(SKIP_2) | instid1(VALU_DEP_1)
	v_rcp_f32_e32 v4, v4
	s_waitcnt_depctr 0xfff
	v_mul_f32_e32 v4, 0x5f7ffffc, v4
	v_mul_f32_e32 v5, 0x2f800000, v4
	s_delay_alu instid0(VALU_DEP_1) | instskip(NEXT) | instid1(VALU_DEP_1)
	v_trunc_f32_e32 v5, v5
	v_fmamk_f32 v4, v5, 0xcf800000, v4
	v_cvt_u32_f32_e32 v5, v5
	s_delay_alu instid0(VALU_DEP_2) | instskip(NEXT) | instid1(VALU_DEP_2)
	v_cvt_u32_f32_e32 v4, v4
	v_mul_lo_u32 v14, s2, v5
	s_delay_alu instid0(VALU_DEP_2) | instskip(SKIP_1) | instid1(VALU_DEP_2)
	v_mul_hi_u32 v15, s2, v4
	v_mul_lo_u32 v16, s5, v4
	v_add_nc_u32_e32 v14, v15, v14
	v_mul_lo_u32 v15, s2, v4
	s_delay_alu instid0(VALU_DEP_2) | instskip(NEXT) | instid1(VALU_DEP_2)
	v_add_nc_u32_e32 v14, v14, v16
	v_mul_hi_u32 v16, v4, v15
	s_delay_alu instid0(VALU_DEP_2)
	v_mul_lo_u32 v17, v4, v14
	v_mul_hi_u32 v18, v4, v14
	v_mul_hi_u32 v19, v5, v15
	v_mul_lo_u32 v15, v5, v15
	v_mul_hi_u32 v20, v5, v14
	v_mul_lo_u32 v14, v5, v14
	v_add_co_u32 v16, vcc_lo, v16, v17
	v_add_co_ci_u32_e32 v17, vcc_lo, 0, v18, vcc_lo
	s_delay_alu instid0(VALU_DEP_2) | instskip(NEXT) | instid1(VALU_DEP_2)
	v_add_co_u32 v15, vcc_lo, v16, v15
	v_add_co_ci_u32_e32 v15, vcc_lo, v17, v19, vcc_lo
	v_add_co_ci_u32_e32 v16, vcc_lo, 0, v20, vcc_lo
	v_ashrrev_i32_e32 v19, 31, v11
	s_delay_alu instid0(VALU_DEP_3) | instskip(NEXT) | instid1(VALU_DEP_3)
	v_add_co_u32 v14, vcc_lo, v15, v14
	v_add_co_ci_u32_e32 v15, vcc_lo, 0, v16, vcc_lo
	s_delay_alu instid0(VALU_DEP_2) | instskip(NEXT) | instid1(VALU_DEP_2)
	v_add_co_u32 v4, vcc_lo, v4, v14
	v_add_co_ci_u32_e32 v5, vcc_lo, v5, v15, vcc_lo
	s_delay_alu instid0(VALU_DEP_2) | instskip(SKIP_1) | instid1(VALU_DEP_3)
	v_mul_hi_u32 v14, s2, v4
	v_mul_lo_u32 v16, s5, v4
	v_mul_lo_u32 v15, s2, v5
	s_delay_alu instid0(VALU_DEP_1) | instskip(SKIP_1) | instid1(VALU_DEP_2)
	v_add_nc_u32_e32 v14, v14, v15
	v_mul_lo_u32 v15, s2, v4
	v_add_nc_u32_e32 v14, v14, v16
	s_delay_alu instid0(VALU_DEP_2) | instskip(NEXT) | instid1(VALU_DEP_2)
	v_mul_hi_u32 v16, v4, v15
	v_mul_lo_u32 v17, v4, v14
	v_mul_hi_u32 v18, v4, v14
	v_mul_hi_u32 v20, v5, v15
	v_mul_lo_u32 v15, v5, v15
	v_mul_hi_u32 v21, v5, v14
	v_mul_lo_u32 v14, v5, v14
	v_add_co_u32 v16, vcc_lo, v16, v17
	v_add_co_ci_u32_e32 v17, vcc_lo, 0, v18, vcc_lo
	s_delay_alu instid0(VALU_DEP_2) | instskip(NEXT) | instid1(VALU_DEP_2)
	v_add_co_u32 v15, vcc_lo, v16, v15
	v_add_co_ci_u32_e32 v15, vcc_lo, v17, v20, vcc_lo
	v_add_co_ci_u32_e32 v16, vcc_lo, 0, v21, vcc_lo
	v_add_co_u32 v17, vcc_lo, v10, v19
	v_add_co_ci_u32_e32 v18, vcc_lo, v11, v19, vcc_lo
	s_delay_alu instid0(VALU_DEP_4) | instskip(NEXT) | instid1(VALU_DEP_4)
	v_add_co_u32 v14, vcc_lo, v15, v14
	v_add_co_ci_u32_e32 v15, vcc_lo, 0, v16, vcc_lo
	s_delay_alu instid0(VALU_DEP_4) | instskip(NEXT) | instid1(VALU_DEP_3)
	v_xor_b32_e32 v20, v17, v19
	v_add_co_u32 v16, vcc_lo, v4, v14
	s_delay_alu instid0(VALU_DEP_3) | instskip(SKIP_1) | instid1(VALU_DEP_3)
	v_add_co_ci_u32_e32 v21, vcc_lo, v5, v15, vcc_lo
	v_xor_b32_e32 v18, v18, v19
	v_mul_hi_u32 v22, v20, v16
	s_delay_alu instid0(VALU_DEP_3) | instskip(NEXT) | instid1(VALU_DEP_3)
	v_mad_u64_u32 v[4:5], null, v20, v21, 0
	v_mad_u64_u32 v[14:15], null, v18, v16, 0
	;; [unrolled: 1-line block ×3, first 2 shown]
	s_delay_alu instid0(VALU_DEP_3) | instskip(NEXT) | instid1(VALU_DEP_4)
	v_add_co_u32 v4, vcc_lo, v22, v4
	v_add_co_ci_u32_e32 v5, vcc_lo, 0, v5, vcc_lo
	s_delay_alu instid0(VALU_DEP_2) | instskip(NEXT) | instid1(VALU_DEP_2)
	v_add_co_u32 v4, vcc_lo, v4, v14
	v_add_co_ci_u32_e32 v4, vcc_lo, v5, v15, vcc_lo
	v_add_co_ci_u32_e32 v5, vcc_lo, 0, v17, vcc_lo
	s_delay_alu instid0(VALU_DEP_2) | instskip(NEXT) | instid1(VALU_DEP_2)
	v_add_co_u32 v14, vcc_lo, v4, v16
	v_add_co_ci_u32_e32 v15, vcc_lo, 0, v5, vcc_lo
	s_delay_alu instid0(VALU_DEP_2) | instskip(SKIP_1) | instid1(VALU_DEP_3)
	v_mul_lo_u32 v16, s7, v14
	v_mad_u64_u32 v[4:5], null, s6, v14, 0
	v_mul_lo_u32 v17, s6, v15
	s_delay_alu instid0(VALU_DEP_2) | instskip(NEXT) | instid1(VALU_DEP_2)
	v_sub_co_u32 v4, vcc_lo, v20, v4
	v_add3_u32 v5, v5, v17, v16
	s_delay_alu instid0(VALU_DEP_1) | instskip(NEXT) | instid1(VALU_DEP_1)
	v_sub_nc_u32_e32 v16, v18, v5
	v_subrev_co_ci_u32_e64 v16, s2, s7, v16, vcc_lo
	v_add_co_u32 v17, s2, v14, 2
	s_delay_alu instid0(VALU_DEP_1) | instskip(SKIP_3) | instid1(VALU_DEP_3)
	v_add_co_ci_u32_e64 v20, s2, 0, v15, s2
	v_sub_co_u32 v21, s2, v4, s6
	v_sub_co_ci_u32_e32 v5, vcc_lo, v18, v5, vcc_lo
	v_subrev_co_ci_u32_e64 v16, s2, 0, v16, s2
	v_cmp_le_u32_e32 vcc_lo, s6, v21
	s_delay_alu instid0(VALU_DEP_3) | instskip(SKIP_1) | instid1(VALU_DEP_4)
	v_cmp_eq_u32_e64 s2, s7, v5
	v_cndmask_b32_e64 v18, 0, -1, vcc_lo
	v_cmp_le_u32_e32 vcc_lo, s7, v16
	v_cndmask_b32_e64 v21, 0, -1, vcc_lo
	v_cmp_le_u32_e32 vcc_lo, s6, v4
	;; [unrolled: 2-line block ×3, first 2 shown]
	v_cndmask_b32_e64 v22, 0, -1, vcc_lo
	v_cmp_eq_u32_e32 vcc_lo, s7, v16
	s_delay_alu instid0(VALU_DEP_2) | instskip(SKIP_3) | instid1(VALU_DEP_3)
	v_cndmask_b32_e64 v4, v22, v4, s2
	v_cndmask_b32_e32 v16, v21, v18, vcc_lo
	v_add_co_u32 v18, vcc_lo, v14, 1
	v_add_co_ci_u32_e32 v21, vcc_lo, 0, v15, vcc_lo
	v_cmp_ne_u32_e32 vcc_lo, 0, v16
	s_delay_alu instid0(VALU_DEP_2) | instskip(SKIP_2) | instid1(VALU_DEP_3)
	v_dual_cndmask_b32 v5, v21, v20 :: v_dual_cndmask_b32 v16, v18, v17
	v_cmp_ne_u32_e32 vcc_lo, 0, v4
	v_xor_b32_e32 v17, s4, v19
	v_dual_cndmask_b32 v4, v15, v5 :: v_dual_cndmask_b32 v5, v14, v16
	s_delay_alu instid0(VALU_DEP_1) | instskip(NEXT) | instid1(VALU_DEP_2)
	v_xor_b32_e32 v14, v4, v17
	v_xor_b32_e32 v5, v5, v17
	s_delay_alu instid0(VALU_DEP_1) | instskip(NEXT) | instid1(VALU_DEP_3)
	v_sub_co_u32 v4, vcc_lo, v5, v17
	v_sub_co_ci_u32_e32 v5, vcc_lo, v14, v17, vcc_lo
.LBB1_19:
	s_and_not1_saveexec_b32 s2, s9
	s_cbranch_execz .LBB1_21
; %bb.20:
	v_cvt_f32_u32_e32 v4, s3
	s_sub_i32 s4, 0, s3
	s_delay_alu instid0(VALU_DEP_1) | instskip(SKIP_2) | instid1(VALU_DEP_1)
	v_rcp_iflag_f32_e32 v4, v4
	s_waitcnt_depctr 0xfff
	v_mul_f32_e32 v4, 0x4f7ffffe, v4
	v_cvt_u32_f32_e32 v4, v4
	s_delay_alu instid0(VALU_DEP_1) | instskip(NEXT) | instid1(VALU_DEP_1)
	v_mul_lo_u32 v5, s4, v4
	v_mul_hi_u32 v5, v4, v5
	s_delay_alu instid0(VALU_DEP_1) | instskip(NEXT) | instid1(VALU_DEP_1)
	v_add_nc_u32_e32 v4, v4, v5
	v_mul_hi_u32 v4, v10, v4
	s_delay_alu instid0(VALU_DEP_1) | instskip(SKIP_1) | instid1(VALU_DEP_2)
	v_mul_lo_u32 v5, v4, s3
	v_add_nc_u32_e32 v14, 1, v4
	v_sub_nc_u32_e32 v5, v10, v5
	s_delay_alu instid0(VALU_DEP_1) | instskip(SKIP_1) | instid1(VALU_DEP_2)
	v_subrev_nc_u32_e32 v15, s3, v5
	v_cmp_le_u32_e32 vcc_lo, s3, v5
	v_dual_cndmask_b32 v5, v5, v15 :: v_dual_cndmask_b32 v4, v4, v14
	s_delay_alu instid0(VALU_DEP_1) | instskip(NEXT) | instid1(VALU_DEP_2)
	v_cmp_le_u32_e32 vcc_lo, s3, v5
	v_dual_mov_b32 v5, 0 :: v_dual_add_nc_u32 v14, 1, v4
	s_delay_alu instid0(VALU_DEP_1)
	v_cndmask_b32_e32 v4, v4, v14, vcc_lo
.LBB1_21:
	s_or_b32 exec_lo, exec_lo, s2
	s_delay_alu instid0(VALU_DEP_1) | instskip(NEXT) | instid1(VALU_DEP_2)
	v_mul_lo_u32 v16, s8, v4
	v_mul_lo_u32 v17, s3, v5
	v_mad_u64_u32 v[14:15], null, s3, v4, 0
	s_delay_alu instid0(VALU_DEP_1) | instskip(NEXT) | instid1(VALU_DEP_2)
	v_add3_u32 v15, v15, v17, v16
	v_sub_co_u32 v14, vcc_lo, v10, v14
	v_mov_b32_e32 v10, 0
	s_delay_alu instid0(VALU_DEP_3) | instskip(NEXT) | instid1(VALU_DEP_1)
	v_sub_co_ci_u32_e32 v15, vcc_lo, v11, v15, vcc_lo
	v_or_b32_e32 v11, s41, v15
	s_delay_alu instid0(VALU_DEP_1) | instskip(SKIP_1) | instid1(SALU_CYCLE_1)
	v_cmp_ne_u64_e32 vcc_lo, 0, v[10:11]
                                        ; implicit-def: $vgpr10_vgpr11
	s_and_saveexec_b32 s2, vcc_lo
	s_xor_b32 s3, exec_lo, s2
	s_cbranch_execz .LBB1_23
; %bb.22:
	s_ashr_i32 s4, s41, 31
	s_delay_alu instid0(SALU_CYCLE_1) | instskip(SKIP_2) | instid1(SALU_CYCLE_1)
	s_add_u32 s6, s40, s4
	s_mov_b32 s5, s4
	s_addc_u32 s7, s41, s4
	s_xor_b64 s[6:7], s[6:7], s[4:5]
	s_delay_alu instid0(SALU_CYCLE_1) | instskip(SKIP_3) | instid1(VALU_DEP_1)
	v_cvt_f32_u32_e32 v10, s6
	v_cvt_f32_u32_e32 v11, s7
	s_sub_u32 s2, 0, s6
	s_subb_u32 s5, 0, s7
	v_fmamk_f32 v10, v11, 0x4f800000, v10
	s_delay_alu instid0(VALU_DEP_1) | instskip(SKIP_2) | instid1(VALU_DEP_1)
	v_rcp_f32_e32 v10, v10
	s_waitcnt_depctr 0xfff
	v_mul_f32_e32 v10, 0x5f7ffffc, v10
	v_mul_f32_e32 v11, 0x2f800000, v10
	s_delay_alu instid0(VALU_DEP_1) | instskip(NEXT) | instid1(VALU_DEP_1)
	v_trunc_f32_e32 v11, v11
	v_fmamk_f32 v10, v11, 0xcf800000, v10
	v_cvt_u32_f32_e32 v11, v11
	s_delay_alu instid0(VALU_DEP_2) | instskip(NEXT) | instid1(VALU_DEP_2)
	v_cvt_u32_f32_e32 v10, v10
	v_mul_lo_u32 v16, s2, v11
	s_delay_alu instid0(VALU_DEP_2) | instskip(SKIP_1) | instid1(VALU_DEP_2)
	v_mul_hi_u32 v17, s2, v10
	v_mul_lo_u32 v18, s5, v10
	v_add_nc_u32_e32 v16, v17, v16
	v_mul_lo_u32 v17, s2, v10
	s_delay_alu instid0(VALU_DEP_2) | instskip(NEXT) | instid1(VALU_DEP_2)
	v_add_nc_u32_e32 v16, v16, v18
	v_mul_hi_u32 v18, v10, v17
	s_delay_alu instid0(VALU_DEP_2)
	v_mul_lo_u32 v19, v10, v16
	v_mul_hi_u32 v20, v10, v16
	v_mul_hi_u32 v21, v11, v17
	v_mul_lo_u32 v17, v11, v17
	v_mul_hi_u32 v22, v11, v16
	v_mul_lo_u32 v16, v11, v16
	v_add_co_u32 v18, vcc_lo, v18, v19
	v_add_co_ci_u32_e32 v19, vcc_lo, 0, v20, vcc_lo
	s_delay_alu instid0(VALU_DEP_2) | instskip(NEXT) | instid1(VALU_DEP_2)
	v_add_co_u32 v17, vcc_lo, v18, v17
	v_add_co_ci_u32_e32 v17, vcc_lo, v19, v21, vcc_lo
	v_add_co_ci_u32_e32 v18, vcc_lo, 0, v22, vcc_lo
	v_ashrrev_i32_e32 v21, 31, v15
	s_delay_alu instid0(VALU_DEP_3) | instskip(NEXT) | instid1(VALU_DEP_3)
	v_add_co_u32 v16, vcc_lo, v17, v16
	v_add_co_ci_u32_e32 v17, vcc_lo, 0, v18, vcc_lo
	s_delay_alu instid0(VALU_DEP_2) | instskip(NEXT) | instid1(VALU_DEP_2)
	v_add_co_u32 v10, vcc_lo, v10, v16
	v_add_co_ci_u32_e32 v11, vcc_lo, v11, v17, vcc_lo
	s_delay_alu instid0(VALU_DEP_2) | instskip(SKIP_1) | instid1(VALU_DEP_3)
	v_mul_hi_u32 v16, s2, v10
	v_mul_lo_u32 v18, s5, v10
	v_mul_lo_u32 v17, s2, v11
	s_delay_alu instid0(VALU_DEP_1) | instskip(SKIP_1) | instid1(VALU_DEP_2)
	v_add_nc_u32_e32 v16, v16, v17
	v_mul_lo_u32 v17, s2, v10
	v_add_nc_u32_e32 v16, v16, v18
	s_delay_alu instid0(VALU_DEP_2) | instskip(NEXT) | instid1(VALU_DEP_2)
	v_mul_hi_u32 v18, v10, v17
	v_mul_lo_u32 v19, v10, v16
	v_mul_hi_u32 v20, v10, v16
	v_mul_hi_u32 v22, v11, v17
	v_mul_lo_u32 v17, v11, v17
	v_mul_hi_u32 v23, v11, v16
	v_mul_lo_u32 v16, v11, v16
	v_add_co_u32 v18, vcc_lo, v18, v19
	v_add_co_ci_u32_e32 v19, vcc_lo, 0, v20, vcc_lo
	s_delay_alu instid0(VALU_DEP_2) | instskip(NEXT) | instid1(VALU_DEP_2)
	v_add_co_u32 v17, vcc_lo, v18, v17
	v_add_co_ci_u32_e32 v17, vcc_lo, v19, v22, vcc_lo
	v_add_co_ci_u32_e32 v18, vcc_lo, 0, v23, vcc_lo
	v_add_co_u32 v19, vcc_lo, v14, v21
	v_add_co_ci_u32_e32 v20, vcc_lo, v15, v21, vcc_lo
	s_delay_alu instid0(VALU_DEP_4) | instskip(NEXT) | instid1(VALU_DEP_4)
	v_add_co_u32 v16, vcc_lo, v17, v16
	v_add_co_ci_u32_e32 v17, vcc_lo, 0, v18, vcc_lo
	s_delay_alu instid0(VALU_DEP_4) | instskip(NEXT) | instid1(VALU_DEP_3)
	v_xor_b32_e32 v22, v19, v21
	v_add_co_u32 v18, vcc_lo, v10, v16
	s_delay_alu instid0(VALU_DEP_3) | instskip(SKIP_1) | instid1(VALU_DEP_3)
	v_add_co_ci_u32_e32 v23, vcc_lo, v11, v17, vcc_lo
	v_xor_b32_e32 v20, v20, v21
	v_mul_hi_u32 v24, v22, v18
	s_delay_alu instid0(VALU_DEP_3) | instskip(NEXT) | instid1(VALU_DEP_3)
	v_mad_u64_u32 v[10:11], null, v22, v23, 0
	v_mad_u64_u32 v[16:17], null, v20, v18, 0
	;; [unrolled: 1-line block ×3, first 2 shown]
	s_delay_alu instid0(VALU_DEP_3) | instskip(NEXT) | instid1(VALU_DEP_4)
	v_add_co_u32 v10, vcc_lo, v24, v10
	v_add_co_ci_u32_e32 v11, vcc_lo, 0, v11, vcc_lo
	s_delay_alu instid0(VALU_DEP_2) | instskip(NEXT) | instid1(VALU_DEP_2)
	v_add_co_u32 v10, vcc_lo, v10, v16
	v_add_co_ci_u32_e32 v10, vcc_lo, v11, v17, vcc_lo
	v_add_co_ci_u32_e32 v11, vcc_lo, 0, v19, vcc_lo
	s_delay_alu instid0(VALU_DEP_2) | instskip(NEXT) | instid1(VALU_DEP_2)
	v_add_co_u32 v16, vcc_lo, v10, v18
	v_add_co_ci_u32_e32 v17, vcc_lo, 0, v11, vcc_lo
	s_delay_alu instid0(VALU_DEP_2) | instskip(SKIP_1) | instid1(VALU_DEP_3)
	v_mul_lo_u32 v18, s7, v16
	v_mad_u64_u32 v[10:11], null, s6, v16, 0
	v_mul_lo_u32 v19, s6, v17
	s_delay_alu instid0(VALU_DEP_2) | instskip(NEXT) | instid1(VALU_DEP_2)
	v_sub_co_u32 v10, vcc_lo, v22, v10
	v_add3_u32 v11, v11, v19, v18
	s_delay_alu instid0(VALU_DEP_1) | instskip(NEXT) | instid1(VALU_DEP_1)
	v_sub_nc_u32_e32 v18, v20, v11
	v_subrev_co_ci_u32_e64 v18, s2, s7, v18, vcc_lo
	v_add_co_u32 v19, s2, v16, 2
	s_delay_alu instid0(VALU_DEP_1) | instskip(SKIP_3) | instid1(VALU_DEP_3)
	v_add_co_ci_u32_e64 v22, s2, 0, v17, s2
	v_sub_co_u32 v23, s2, v10, s6
	v_sub_co_ci_u32_e32 v11, vcc_lo, v20, v11, vcc_lo
	v_subrev_co_ci_u32_e64 v18, s2, 0, v18, s2
	v_cmp_le_u32_e32 vcc_lo, s6, v23
	s_delay_alu instid0(VALU_DEP_3) | instskip(SKIP_1) | instid1(VALU_DEP_4)
	v_cmp_eq_u32_e64 s2, s7, v11
	v_cndmask_b32_e64 v20, 0, -1, vcc_lo
	v_cmp_le_u32_e32 vcc_lo, s7, v18
	v_cndmask_b32_e64 v23, 0, -1, vcc_lo
	v_cmp_le_u32_e32 vcc_lo, s6, v10
	;; [unrolled: 2-line block ×3, first 2 shown]
	v_cndmask_b32_e64 v24, 0, -1, vcc_lo
	v_cmp_eq_u32_e32 vcc_lo, s7, v18
	s_delay_alu instid0(VALU_DEP_2) | instskip(SKIP_3) | instid1(VALU_DEP_3)
	v_cndmask_b32_e64 v10, v24, v10, s2
	v_cndmask_b32_e32 v18, v23, v20, vcc_lo
	v_add_co_u32 v20, vcc_lo, v16, 1
	v_add_co_ci_u32_e32 v23, vcc_lo, 0, v17, vcc_lo
	v_cmp_ne_u32_e32 vcc_lo, 0, v18
	s_delay_alu instid0(VALU_DEP_2) | instskip(SKIP_2) | instid1(VALU_DEP_3)
	v_dual_cndmask_b32 v11, v23, v22 :: v_dual_cndmask_b32 v18, v20, v19
	v_cmp_ne_u32_e32 vcc_lo, 0, v10
	v_xor_b32_e32 v19, s4, v21
	v_dual_cndmask_b32 v10, v17, v11 :: v_dual_cndmask_b32 v11, v16, v18
	s_delay_alu instid0(VALU_DEP_1) | instskip(NEXT) | instid1(VALU_DEP_2)
	v_xor_b32_e32 v16, v10, v19
	v_xor_b32_e32 v11, v11, v19
	s_delay_alu instid0(VALU_DEP_1) | instskip(NEXT) | instid1(VALU_DEP_3)
	v_sub_co_u32 v10, vcc_lo, v11, v19
	v_sub_co_ci_u32_e32 v11, vcc_lo, v16, v19, vcc_lo
.LBB1_23:
	s_and_not1_saveexec_b32 s2, s3
	s_cbranch_execz .LBB1_25
; %bb.24:
	v_cvt_f32_u32_e32 v10, s40
	s_sub_i32 s3, 0, s40
	s_delay_alu instid0(VALU_DEP_1) | instskip(SKIP_2) | instid1(VALU_DEP_1)
	v_rcp_iflag_f32_e32 v10, v10
	s_waitcnt_depctr 0xfff
	v_mul_f32_e32 v10, 0x4f7ffffe, v10
	v_cvt_u32_f32_e32 v10, v10
	s_delay_alu instid0(VALU_DEP_1) | instskip(NEXT) | instid1(VALU_DEP_1)
	v_mul_lo_u32 v11, s3, v10
	v_mul_hi_u32 v11, v10, v11
	s_delay_alu instid0(VALU_DEP_1) | instskip(NEXT) | instid1(VALU_DEP_1)
	v_add_nc_u32_e32 v10, v10, v11
	v_mul_hi_u32 v10, v14, v10
	s_delay_alu instid0(VALU_DEP_1) | instskip(SKIP_1) | instid1(VALU_DEP_2)
	v_mul_lo_u32 v11, v10, s40
	v_add_nc_u32_e32 v16, 1, v10
	v_sub_nc_u32_e32 v11, v14, v11
	s_delay_alu instid0(VALU_DEP_1) | instskip(SKIP_1) | instid1(VALU_DEP_2)
	v_subrev_nc_u32_e32 v17, s40, v11
	v_cmp_le_u32_e32 vcc_lo, s40, v11
	v_dual_cndmask_b32 v11, v11, v17 :: v_dual_cndmask_b32 v10, v10, v16
	s_delay_alu instid0(VALU_DEP_1) | instskip(NEXT) | instid1(VALU_DEP_2)
	v_cmp_le_u32_e32 vcc_lo, s40, v11
	v_dual_mov_b32 v11, 0 :: v_dual_add_nc_u32 v16, 1, v10
	s_delay_alu instid0(VALU_DEP_1)
	v_cndmask_b32_e32 v10, v10, v16, vcc_lo
.LBB1_25:
	s_or_b32 exec_lo, exec_lo, s2
	v_mul_lo_u32 v18, v7, s22
	v_mul_lo_u32 v19, v6, s23
	v_mad_u64_u32 v[16:17], null, v6, s22, 0
	v_mul_lo_u32 v7, v7, s30
	v_mul_lo_u32 v3, v3, s36
	s_load_b64 s[0:1], s[0:1], 0x80
	s_delay_alu instid0(VALU_DEP_3) | instskip(NEXT) | instid1(VALU_DEP_4)
	v_add3_u32 v17, v17, v19, v18
	v_sub_co_u32 v12, vcc_lo, v12, v16
	s_delay_alu instid0(VALU_DEP_2) | instskip(NEXT) | instid1(VALU_DEP_1)
	v_sub_co_ci_u32_e32 v13, vcc_lo, v13, v17, vcc_lo
	v_ashrrev_i32_e32 v16, 31, v13
	s_delay_alu instid0(VALU_DEP_1) | instskip(SKIP_2) | instid1(VALU_DEP_2)
	v_lshrrev_b32_e32 v16, 27, v16
	s_waitcnt lgkmcnt(0)
	v_mul_lo_u32 v9, v9, s0
	v_add_co_u32 v12, vcc_lo, v12, v16
	v_add_co_ci_u32_e32 v13, vcc_lo, 0, v13, vcc_lo
	s_delay_alu instid0(VALU_DEP_1) | instskip(NEXT) | instid1(VALU_DEP_1)
	v_ashrrev_i64 v[12:13], 5, v[12:13]
	v_mul_lo_u32 v18, v12, s29
	s_delay_alu instid0(VALU_DEP_2) | instskip(SKIP_1) | instid1(VALU_DEP_1)
	v_mul_lo_u32 v13, v13, s28
	v_mad_u64_u32 v[16:17], null, v12, s28, s[16:17]
	v_add3_u32 v17, v13, v17, v18
	v_mul_lo_u32 v18, v6, s31
	s_delay_alu instid0(VALU_DEP_2) | instskip(SKIP_1) | instid1(VALU_DEP_2)
	v_mad_u64_u32 v[12:13], null, v6, s30, v[16:17]
	v_mul_lo_u32 v16, v2, s37
	v_add3_u32 v13, v7, v13, v18
	s_delay_alu instid0(VALU_DEP_1) | instskip(SKIP_1) | instid1(VALU_DEP_2)
	v_mad_u64_u32 v[6:7], null, v2, s36, v[12:13]
	v_mul_lo_u32 v12, v1, s38
	v_add3_u32 v7, v3, v7, v16
	v_mul_lo_u32 v3, v0, s39
	s_delay_alu instid0(VALU_DEP_2) | instskip(SKIP_1) | instid1(VALU_DEP_2)
	v_mad_u64_u32 v[1:2], null, v0, s38, v[6:7]
	v_mad_u64_u32 v[6:7], null, v10, s40, 0
	v_add3_u32 v2, v12, v2, v3
	s_clause 0x1
	global_load_u16 v0, v[1:2], off offset:2
	global_load_u16 v13, v[1:2], off
	v_mul_lo_u32 v3, v11, s40
	v_mul_lo_u32 v12, v10, s41
	s_delay_alu instid0(VALU_DEP_1) | instskip(SKIP_1) | instid1(VALU_DEP_2)
	v_add3_u32 v3, v7, v12, v3
	v_sub_co_u32 v12, vcc_lo, v14, v6
	v_sub_co_ci_u32_e32 v3, vcc_lo, v15, v3, vcc_lo
	s_delay_alu instid0(VALU_DEP_2) | instskip(SKIP_1) | instid1(VALU_DEP_3)
	v_mul_lo_u32 v14, v12, s47
	v_mad_u64_u32 v[6:7], null, v12, s46, s[18:19]
	v_mul_lo_u32 v3, v3, s46
	s_delay_alu instid0(VALU_DEP_1) | instskip(SKIP_2) | instid1(VALU_DEP_3)
	v_add3_u32 v7, v3, v7, v14
	v_mul_lo_u32 v3, v10, s49
	v_mul_lo_u32 v14, v11, s48
	v_mad_u64_u32 v[11:12], null, v10, s48, v[6:7]
	v_mul_lo_u32 v7, v5, s50
	v_mul_lo_u32 v10, v8, s1
	s_delay_alu instid0(VALU_DEP_3) | instskip(SKIP_1) | instid1(VALU_DEP_2)
	v_add3_u32 v12, v14, v12, v3
	v_mul_lo_u32 v3, v4, s51
	v_mad_u64_u32 v[5:6], null, v4, s50, v[11:12]
	s_delay_alu instid0(VALU_DEP_1) | instskip(NEXT) | instid1(VALU_DEP_1)
	v_add3_u32 v6, v7, v6, v3
	v_mad_u64_u32 v[3:4], null, v8, s0, v[5:6]
	s_delay_alu instid0(VALU_DEP_1)
	v_add3_u32 v4, v9, v4, v10
	s_waitcnt vmcnt(1)
	v_bfe_i32 v7, v0, 0, 8
	v_ashrrev_i16 v0, 8, v0
	s_waitcnt vmcnt(0)
	v_cvt_f32_f16_e32 v6, v13
	s_delay_alu instid0(VALU_DEP_3) | instskip(NEXT) | instid1(VALU_DEP_3)
	v_bfe_i32 v5, v7, 0, 16
	v_bfe_i32 v0, v0, 0, 16
	s_delay_alu instid0(VALU_DEP_2) | instskip(NEXT) | instid1(VALU_DEP_2)
	v_cvt_f32_i32_e32 v5, v5
	v_cvt_f32_i32_e32 v0, v0
	s_delay_alu instid0(VALU_DEP_2) | instskip(NEXT) | instid1(VALU_DEP_2)
	v_mul_f32_e32 v5, v6, v5
	v_mul_f32_e32 v6, v6, v0
	global_store_b64 v[3:4], v[5:6], off
	s_clause 0x1
	global_load_u16 v0, v[1:2], off offset:4
	global_load_u16 v5, v[1:2], off
	s_waitcnt vmcnt(1)
	v_bfe_i32 v6, v0, 0, 8
	v_ashrrev_i16 v0, 8, v0
	s_waitcnt vmcnt(0)
	v_cvt_f32_f16_e32 v7, v5
	s_delay_alu instid0(VALU_DEP_3) | instskip(NEXT) | instid1(VALU_DEP_3)
	v_bfe_i32 v6, v6, 0, 16
	v_bfe_i32 v0, v0, 0, 16
	s_delay_alu instid0(VALU_DEP_2) | instskip(NEXT) | instid1(VALU_DEP_2)
	v_cvt_f32_i32_e32 v5, v6
	v_cvt_f32_i32_e32 v0, v0
	s_delay_alu instid0(VALU_DEP_2) | instskip(NEXT) | instid1(VALU_DEP_2)
	v_mul_f32_e32 v5, v7, v5
	v_mul_f32_e32 v6, v7, v0
	global_store_b64 v[3:4], v[5:6], off offset:8
	s_clause 0x1
	global_load_u16 v0, v[1:2], off offset:6
	global_load_u16 v5, v[1:2], off
	s_waitcnt vmcnt(1)
	v_bfe_i32 v6, v0, 0, 8
	v_ashrrev_i16 v0, 8, v0
	s_waitcnt vmcnt(0)
	v_cvt_f32_f16_e32 v7, v5
	s_delay_alu instid0(VALU_DEP_3) | instskip(NEXT) | instid1(VALU_DEP_3)
	v_bfe_i32 v6, v6, 0, 16
	v_bfe_i32 v0, v0, 0, 16
	s_delay_alu instid0(VALU_DEP_2) | instskip(NEXT) | instid1(VALU_DEP_2)
	v_cvt_f32_i32_e32 v5, v6
	v_cvt_f32_i32_e32 v0, v0
	s_delay_alu instid0(VALU_DEP_2) | instskip(NEXT) | instid1(VALU_DEP_2)
	v_mul_f32_e32 v5, v7, v5
	v_mul_f32_e32 v6, v7, v0
	global_store_b64 v[3:4], v[5:6], off offset:16
	s_clause 0x1
	global_load_u16 v0, v[1:2], off offset:8
	global_load_u16 v5, v[1:2], off
	s_waitcnt vmcnt(1)
	v_bfe_i32 v6, v0, 0, 8
	v_ashrrev_i16 v0, 8, v0
	s_waitcnt vmcnt(0)
	v_cvt_f32_f16_e32 v7, v5
	s_delay_alu instid0(VALU_DEP_3) | instskip(NEXT) | instid1(VALU_DEP_3)
	v_bfe_i32 v6, v6, 0, 16
	v_bfe_i32 v0, v0, 0, 16
	s_delay_alu instid0(VALU_DEP_2) | instskip(NEXT) | instid1(VALU_DEP_2)
	v_cvt_f32_i32_e32 v5, v6
	v_cvt_f32_i32_e32 v0, v0
	s_delay_alu instid0(VALU_DEP_2) | instskip(NEXT) | instid1(VALU_DEP_2)
	v_mul_f32_e32 v5, v7, v5
	v_mul_f32_e32 v6, v7, v0
	global_store_b64 v[3:4], v[5:6], off offset:24
	s_clause 0x1
	global_load_u16 v0, v[1:2], off offset:10
	global_load_u16 v5, v[1:2], off
	s_waitcnt vmcnt(1)
	v_bfe_i32 v6, v0, 0, 8
	v_ashrrev_i16 v0, 8, v0
	s_waitcnt vmcnt(0)
	v_cvt_f32_f16_e32 v7, v5
	s_delay_alu instid0(VALU_DEP_3) | instskip(NEXT) | instid1(VALU_DEP_3)
	v_bfe_i32 v6, v6, 0, 16
	v_bfe_i32 v0, v0, 0, 16
	s_delay_alu instid0(VALU_DEP_2) | instskip(NEXT) | instid1(VALU_DEP_2)
	v_cvt_f32_i32_e32 v5, v6
	v_cvt_f32_i32_e32 v0, v0
	s_delay_alu instid0(VALU_DEP_2) | instskip(NEXT) | instid1(VALU_DEP_2)
	v_mul_f32_e32 v5, v7, v5
	v_mul_f32_e32 v6, v7, v0
	global_store_b64 v[3:4], v[5:6], off offset:32
	s_clause 0x1
	global_load_u16 v0, v[1:2], off offset:12
	global_load_u16 v5, v[1:2], off
	s_waitcnt vmcnt(1)
	v_bfe_i32 v6, v0, 0, 8
	v_ashrrev_i16 v0, 8, v0
	s_waitcnt vmcnt(0)
	v_cvt_f32_f16_e32 v7, v5
	s_delay_alu instid0(VALU_DEP_3) | instskip(NEXT) | instid1(VALU_DEP_3)
	v_bfe_i32 v6, v6, 0, 16
	v_bfe_i32 v0, v0, 0, 16
	s_delay_alu instid0(VALU_DEP_2) | instskip(NEXT) | instid1(VALU_DEP_2)
	v_cvt_f32_i32_e32 v5, v6
	v_cvt_f32_i32_e32 v0, v0
	s_delay_alu instid0(VALU_DEP_2) | instskip(NEXT) | instid1(VALU_DEP_2)
	v_mul_f32_e32 v5, v7, v5
	v_mul_f32_e32 v6, v7, v0
	global_store_b64 v[3:4], v[5:6], off offset:40
	s_clause 0x1
	global_load_u16 v0, v[1:2], off offset:14
	global_load_u16 v5, v[1:2], off
	s_waitcnt vmcnt(1)
	v_bfe_i32 v6, v0, 0, 8
	v_ashrrev_i16 v0, 8, v0
	s_waitcnt vmcnt(0)
	v_cvt_f32_f16_e32 v7, v5
	s_delay_alu instid0(VALU_DEP_3) | instskip(NEXT) | instid1(VALU_DEP_3)
	v_bfe_i32 v6, v6, 0, 16
	v_bfe_i32 v0, v0, 0, 16
	s_delay_alu instid0(VALU_DEP_2) | instskip(NEXT) | instid1(VALU_DEP_2)
	v_cvt_f32_i32_e32 v5, v6
	v_cvt_f32_i32_e32 v0, v0
	s_delay_alu instid0(VALU_DEP_2) | instskip(NEXT) | instid1(VALU_DEP_2)
	v_mul_f32_e32 v5, v7, v5
	v_mul_f32_e32 v6, v7, v0
	global_store_b64 v[3:4], v[5:6], off offset:48
	s_clause 0x1
	global_load_u16 v0, v[1:2], off offset:16
	global_load_u16 v5, v[1:2], off
	s_waitcnt vmcnt(1)
	v_bfe_i32 v6, v0, 0, 8
	v_ashrrev_i16 v0, 8, v0
	s_waitcnt vmcnt(0)
	v_cvt_f32_f16_e32 v7, v5
	s_delay_alu instid0(VALU_DEP_3) | instskip(NEXT) | instid1(VALU_DEP_3)
	v_bfe_i32 v6, v6, 0, 16
	v_bfe_i32 v0, v0, 0, 16
	s_delay_alu instid0(VALU_DEP_2) | instskip(NEXT) | instid1(VALU_DEP_2)
	v_cvt_f32_i32_e32 v5, v6
	v_cvt_f32_i32_e32 v0, v0
	s_delay_alu instid0(VALU_DEP_2) | instskip(NEXT) | instid1(VALU_DEP_2)
	v_mul_f32_e32 v5, v7, v5
	v_mul_f32_e32 v6, v7, v0
	global_store_b64 v[3:4], v[5:6], off offset:56
	s_clause 0x1
	global_load_u16 v0, v[1:2], off offset:18
	global_load_u16 v5, v[1:2], off
	s_waitcnt vmcnt(1)
	v_bfe_i32 v6, v0, 0, 8
	v_ashrrev_i16 v0, 8, v0
	s_waitcnt vmcnt(0)
	v_cvt_f32_f16_e32 v7, v5
	s_delay_alu instid0(VALU_DEP_3) | instskip(NEXT) | instid1(VALU_DEP_3)
	v_bfe_i32 v6, v6, 0, 16
	v_bfe_i32 v0, v0, 0, 16
	s_delay_alu instid0(VALU_DEP_2) | instskip(NEXT) | instid1(VALU_DEP_2)
	v_cvt_f32_i32_e32 v5, v6
	v_cvt_f32_i32_e32 v0, v0
	s_delay_alu instid0(VALU_DEP_2) | instskip(NEXT) | instid1(VALU_DEP_2)
	v_mul_f32_e32 v5, v7, v5
	v_mul_f32_e32 v6, v7, v0
	global_store_b64 v[3:4], v[5:6], off offset:64
	s_clause 0x1
	global_load_u16 v0, v[1:2], off offset:20
	global_load_u16 v5, v[1:2], off
	s_waitcnt vmcnt(1)
	v_bfe_i32 v6, v0, 0, 8
	v_ashrrev_i16 v0, 8, v0
	s_waitcnt vmcnt(0)
	v_cvt_f32_f16_e32 v7, v5
	s_delay_alu instid0(VALU_DEP_3) | instskip(NEXT) | instid1(VALU_DEP_3)
	v_bfe_i32 v6, v6, 0, 16
	v_bfe_i32 v0, v0, 0, 16
	s_delay_alu instid0(VALU_DEP_2) | instskip(NEXT) | instid1(VALU_DEP_2)
	v_cvt_f32_i32_e32 v5, v6
	v_cvt_f32_i32_e32 v0, v0
	s_delay_alu instid0(VALU_DEP_2) | instskip(NEXT) | instid1(VALU_DEP_2)
	v_mul_f32_e32 v5, v7, v5
	v_mul_f32_e32 v6, v7, v0
	global_store_b64 v[3:4], v[5:6], off offset:72
	s_clause 0x1
	global_load_u16 v0, v[1:2], off offset:22
	global_load_u16 v5, v[1:2], off
	s_waitcnt vmcnt(1)
	v_bfe_i32 v6, v0, 0, 8
	v_ashrrev_i16 v0, 8, v0
	s_waitcnt vmcnt(0)
	v_cvt_f32_f16_e32 v7, v5
	s_delay_alu instid0(VALU_DEP_3) | instskip(NEXT) | instid1(VALU_DEP_3)
	v_bfe_i32 v6, v6, 0, 16
	v_bfe_i32 v0, v0, 0, 16
	s_delay_alu instid0(VALU_DEP_2) | instskip(NEXT) | instid1(VALU_DEP_2)
	v_cvt_f32_i32_e32 v5, v6
	v_cvt_f32_i32_e32 v0, v0
	s_delay_alu instid0(VALU_DEP_2) | instskip(NEXT) | instid1(VALU_DEP_2)
	v_mul_f32_e32 v5, v7, v5
	v_mul_f32_e32 v6, v7, v0
	global_store_b64 v[3:4], v[5:6], off offset:80
	s_clause 0x1
	global_load_u16 v0, v[1:2], off offset:24
	global_load_u16 v5, v[1:2], off
	s_waitcnt vmcnt(1)
	v_bfe_i32 v6, v0, 0, 8
	v_ashrrev_i16 v0, 8, v0
	s_waitcnt vmcnt(0)
	v_cvt_f32_f16_e32 v7, v5
	s_delay_alu instid0(VALU_DEP_3) | instskip(NEXT) | instid1(VALU_DEP_3)
	v_bfe_i32 v6, v6, 0, 16
	v_bfe_i32 v0, v0, 0, 16
	s_delay_alu instid0(VALU_DEP_2) | instskip(NEXT) | instid1(VALU_DEP_2)
	v_cvt_f32_i32_e32 v5, v6
	v_cvt_f32_i32_e32 v0, v0
	s_delay_alu instid0(VALU_DEP_2) | instskip(NEXT) | instid1(VALU_DEP_2)
	v_mul_f32_e32 v5, v7, v5
	v_mul_f32_e32 v6, v7, v0
	global_store_b64 v[3:4], v[5:6], off offset:88
	s_clause 0x1
	global_load_u16 v0, v[1:2], off offset:26
	global_load_u16 v5, v[1:2], off
	s_waitcnt vmcnt(1)
	v_bfe_i32 v6, v0, 0, 8
	v_ashrrev_i16 v0, 8, v0
	s_waitcnt vmcnt(0)
	v_cvt_f32_f16_e32 v7, v5
	s_delay_alu instid0(VALU_DEP_3) | instskip(NEXT) | instid1(VALU_DEP_3)
	v_bfe_i32 v6, v6, 0, 16
	v_bfe_i32 v0, v0, 0, 16
	s_delay_alu instid0(VALU_DEP_2) | instskip(NEXT) | instid1(VALU_DEP_2)
	v_cvt_f32_i32_e32 v5, v6
	v_cvt_f32_i32_e32 v0, v0
	s_delay_alu instid0(VALU_DEP_2) | instskip(NEXT) | instid1(VALU_DEP_2)
	v_mul_f32_e32 v5, v7, v5
	v_mul_f32_e32 v6, v7, v0
	global_store_b64 v[3:4], v[5:6], off offset:96
	s_clause 0x1
	global_load_u16 v0, v[1:2], off offset:28
	global_load_u16 v5, v[1:2], off
	s_waitcnt vmcnt(1)
	v_bfe_i32 v6, v0, 0, 8
	v_ashrrev_i16 v0, 8, v0
	s_waitcnt vmcnt(0)
	v_cvt_f32_f16_e32 v7, v5
	s_delay_alu instid0(VALU_DEP_3) | instskip(NEXT) | instid1(VALU_DEP_3)
	v_bfe_i32 v6, v6, 0, 16
	v_bfe_i32 v0, v0, 0, 16
	s_delay_alu instid0(VALU_DEP_2) | instskip(NEXT) | instid1(VALU_DEP_2)
	v_cvt_f32_i32_e32 v5, v6
	v_cvt_f32_i32_e32 v0, v0
	s_delay_alu instid0(VALU_DEP_2) | instskip(NEXT) | instid1(VALU_DEP_2)
	v_mul_f32_e32 v5, v7, v5
	v_mul_f32_e32 v6, v7, v0
	global_store_b64 v[3:4], v[5:6], off offset:104
	s_clause 0x1
	global_load_u16 v0, v[1:2], off offset:30
	global_load_u16 v5, v[1:2], off
	s_waitcnt vmcnt(1)
	v_bfe_i32 v6, v0, 0, 8
	v_ashrrev_i16 v0, 8, v0
	s_waitcnt vmcnt(0)
	v_cvt_f32_f16_e32 v7, v5
	s_delay_alu instid0(VALU_DEP_3) | instskip(NEXT) | instid1(VALU_DEP_3)
	v_bfe_i32 v6, v6, 0, 16
	v_bfe_i32 v0, v0, 0, 16
	s_delay_alu instid0(VALU_DEP_2) | instskip(NEXT) | instid1(VALU_DEP_2)
	v_cvt_f32_i32_e32 v5, v6
	v_cvt_f32_i32_e32 v0, v0
	s_delay_alu instid0(VALU_DEP_2) | instskip(NEXT) | instid1(VALU_DEP_2)
	v_mul_f32_e32 v5, v7, v5
	v_mul_f32_e32 v6, v7, v0
	global_store_b64 v[3:4], v[5:6], off offset:112
	s_clause 0x1
	global_load_u16 v0, v[1:2], off offset:32
	global_load_u16 v1, v[1:2], off
	s_waitcnt vmcnt(1)
	v_bfe_i32 v2, v0, 0, 8
	v_ashrrev_i16 v0, 8, v0
	s_waitcnt vmcnt(0)
	v_cvt_f32_f16_e32 v1, v1
	s_delay_alu instid0(VALU_DEP_3) | instskip(NEXT) | instid1(VALU_DEP_3)
	v_bfe_i32 v2, v2, 0, 16
	v_bfe_i32 v0, v0, 0, 16
	s_delay_alu instid0(VALU_DEP_2) | instskip(NEXT) | instid1(VALU_DEP_2)
	v_cvt_f32_i32_e32 v2, v2
	v_cvt_f32_i32_e32 v5, v0
	s_delay_alu instid0(VALU_DEP_2) | instskip(NEXT) | instid1(VALU_DEP_2)
	v_mul_f32_e32 v0, v1, v2
	v_mul_f32_e32 v1, v1, v5
	global_store_b64 v[3:4], v[0:1], off offset:120
.LBB1_26:
	s_nop 0
	s_sendmsg sendmsg(MSG_DEALLOC_VGPRS)
	s_endpgm
	.section	.rodata,"a",@progbits
	.p2align	6, 0x0
	.amdhsa_kernel _ZL9cpy_q_f32IXadL_ZL17cpy_blck_q8_0_f32PKcPcEELi32EEvS1_S2_lllllllllllllll
		.amdhsa_group_segment_fixed_size 0
		.amdhsa_private_segment_fixed_size 0
		.amdhsa_kernarg_size 392
		.amdhsa_user_sgpr_count 15
		.amdhsa_user_sgpr_dispatch_ptr 0
		.amdhsa_user_sgpr_queue_ptr 0
		.amdhsa_user_sgpr_kernarg_segment_ptr 1
		.amdhsa_user_sgpr_dispatch_id 0
		.amdhsa_user_sgpr_private_segment_size 0
		.amdhsa_wavefront_size32 1
		.amdhsa_uses_dynamic_stack 0
		.amdhsa_enable_private_segment 0
		.amdhsa_system_sgpr_workgroup_id_x 1
		.amdhsa_system_sgpr_workgroup_id_y 0
		.amdhsa_system_sgpr_workgroup_id_z 0
		.amdhsa_system_sgpr_workgroup_info 0
		.amdhsa_system_vgpr_workitem_id 0
		.amdhsa_next_free_vgpr 25
		.amdhsa_next_free_sgpr 52
		.amdhsa_reserve_vcc 1
		.amdhsa_float_round_mode_32 0
		.amdhsa_float_round_mode_16_64 0
		.amdhsa_float_denorm_mode_32 3
		.amdhsa_float_denorm_mode_16_64 3
		.amdhsa_dx10_clamp 1
		.amdhsa_ieee_mode 1
		.amdhsa_fp16_overflow 0
		.amdhsa_workgroup_processor_mode 1
		.amdhsa_memory_ordered 1
		.amdhsa_forward_progress 0
		.amdhsa_shared_vgpr_count 0
		.amdhsa_exception_fp_ieee_invalid_op 0
		.amdhsa_exception_fp_denorm_src 0
		.amdhsa_exception_fp_ieee_div_zero 0
		.amdhsa_exception_fp_ieee_overflow 0
		.amdhsa_exception_fp_ieee_underflow 0
		.amdhsa_exception_fp_ieee_inexact 0
		.amdhsa_exception_int_div_zero 0
	.end_amdhsa_kernel
	.section	.text._ZL9cpy_q_f32IXadL_ZL17cpy_blck_q8_0_f32PKcPcEELi32EEvS1_S2_lllllllllllllll,"axG",@progbits,_ZL9cpy_q_f32IXadL_ZL17cpy_blck_q8_0_f32PKcPcEELi32EEvS1_S2_lllllllllllllll,comdat
.Lfunc_end1:
	.size	_ZL9cpy_q_f32IXadL_ZL17cpy_blck_q8_0_f32PKcPcEELi32EEvS1_S2_lllllllllllllll, .Lfunc_end1-_ZL9cpy_q_f32IXadL_ZL17cpy_blck_q8_0_f32PKcPcEELi32EEvS1_S2_lllllllllllllll
                                        ; -- End function
	.section	.AMDGPU.csdata,"",@progbits
; Kernel info:
; codeLenInByte = 8380
; NumSgprs: 54
; NumVgprs: 25
; ScratchSize: 0
; MemoryBound: 0
; FloatMode: 240
; IeeeMode: 1
; LDSByteSize: 0 bytes/workgroup (compile time only)
; SGPRBlocks: 6
; VGPRBlocks: 3
; NumSGPRsForWavesPerEU: 54
; NumVGPRsForWavesPerEU: 25
; Occupancy: 16
; WaveLimiterHint : 0
; COMPUTE_PGM_RSRC2:SCRATCH_EN: 0
; COMPUTE_PGM_RSRC2:USER_SGPR: 15
; COMPUTE_PGM_RSRC2:TRAP_HANDLER: 0
; COMPUTE_PGM_RSRC2:TGID_X_EN: 1
; COMPUTE_PGM_RSRC2:TGID_Y_EN: 0
; COMPUTE_PGM_RSRC2:TGID_Z_EN: 0
; COMPUTE_PGM_RSRC2:TIDIG_COMP_CNT: 0
	.section	.text._ZL9cpy_f32_qIXadL_ZL17cpy_blck_f32_q4_0PKcPcEELi32EEvS1_S2_lllllllllllllll,"axG",@progbits,_ZL9cpy_f32_qIXadL_ZL17cpy_blck_f32_q4_0PKcPcEELi32EEvS1_S2_lllllllllllllll,comdat
	.globl	_ZL9cpy_f32_qIXadL_ZL17cpy_blck_f32_q4_0PKcPcEELi32EEvS1_S2_lllllllllllllll ; -- Begin function _ZL9cpy_f32_qIXadL_ZL17cpy_blck_f32_q4_0PKcPcEELi32EEvS1_S2_lllllllllllllll
	.p2align	8
	.type	_ZL9cpy_f32_qIXadL_ZL17cpy_blck_f32_q4_0PKcPcEELi32EEvS1_S2_lllllllllllllll,@function
_ZL9cpy_f32_qIXadL_ZL17cpy_blck_f32_q4_0PKcPcEELi32EEvS1_S2_lllllllllllllll: ; @_ZL9cpy_f32_qIXadL_ZL17cpy_blck_f32_q4_0PKcPcEELi32EEvS1_S2_lllllllllllllll
; %bb.0:
	s_load_b32 s2, s[0:1], 0x94
	v_mov_b32_e32 v2, 0
	s_load_b512 s[16:31], s[0:1], 0x0
	s_delay_alu instid0(VALU_DEP_1)
	v_mov_b32_e32 v1, v2
	s_waitcnt lgkmcnt(0)
	s_and_b32 s2, s2, 0xffff
	s_delay_alu instid0(VALU_DEP_1) | instid1(SALU_CYCLE_1)
	v_mad_u64_u32 v[3:4], null, s2, s15, v[0:1]
	s_mov_b32 s2, exec_lo
	s_delay_alu instid0(VALU_DEP_1) | instskip(NEXT) | instid1(VALU_DEP_1)
	v_lshlrev_b64 v[6:7], 5, v[3:4]
	v_cmpx_gt_i64_e64 s[20:21], v[6:7]
	s_cbranch_execz .LBB2_26
; %bb.1:
	s_mul_i32 s2, s24, s23
	s_mul_hi_u32 s3, s24, s22
                                        ; implicit-def: $vgpr0_vgpr1
	s_delay_alu instid0(SALU_CYCLE_1)
	s_add_i32 s8, s3, s2
	s_mul_i32 s3, s24, s22
	s_mul_i32 s2, s25, s22
	;; [unrolled: 1-line block ×3, first 2 shown]
	s_mul_hi_u32 s5, s3, s26
	s_add_i32 s8, s8, s2
	s_add_i32 s2, s5, s4
	s_mul_i32 s4, s8, s26
	s_mul_i32 s10, s3, s26
	s_add_i32 s9, s2, s4
	s_mov_b32 s2, exec_lo
	v_or_b32_e32 v3, s9, v7
	s_delay_alu instid0(VALU_DEP_1)
	v_cmpx_ne_u64_e32 0, v[2:3]
	s_xor_b32 s11, exec_lo, s2
	s_cbranch_execz .LBB2_3
; %bb.2:
	s_ashr_i32 s4, s9, 31
	s_delay_alu instid0(SALU_CYCLE_1) | instskip(SKIP_2) | instid1(SALU_CYCLE_1)
	s_add_u32 s6, s10, s4
	s_mov_b32 s5, s4
	s_addc_u32 s7, s9, s4
	s_xor_b64 s[6:7], s[6:7], s[4:5]
	s_delay_alu instid0(SALU_CYCLE_1) | instskip(SKIP_3) | instid1(VALU_DEP_1)
	v_cvt_f32_u32_e32 v0, s6
	v_cvt_f32_u32_e32 v1, s7
	s_sub_u32 s2, 0, s6
	s_subb_u32 s5, 0, s7
	v_fmamk_f32 v0, v1, 0x4f800000, v0
	s_delay_alu instid0(VALU_DEP_1) | instskip(SKIP_2) | instid1(VALU_DEP_1)
	v_rcp_f32_e32 v0, v0
	s_waitcnt_depctr 0xfff
	v_mul_f32_e32 v0, 0x5f7ffffc, v0
	v_mul_f32_e32 v1, 0x2f800000, v0
	s_delay_alu instid0(VALU_DEP_1) | instskip(NEXT) | instid1(VALU_DEP_1)
	v_trunc_f32_e32 v1, v1
	v_fmamk_f32 v0, v1, 0xcf800000, v0
	v_cvt_u32_f32_e32 v1, v1
	s_delay_alu instid0(VALU_DEP_2) | instskip(NEXT) | instid1(VALU_DEP_2)
	v_cvt_u32_f32_e32 v0, v0
	v_mul_lo_u32 v2, s2, v1
	s_delay_alu instid0(VALU_DEP_2) | instskip(SKIP_1) | instid1(VALU_DEP_2)
	v_mul_hi_u32 v3, s2, v0
	v_mul_lo_u32 v4, s5, v0
	v_add_nc_u32_e32 v2, v3, v2
	v_mul_lo_u32 v3, s2, v0
	s_delay_alu instid0(VALU_DEP_2) | instskip(NEXT) | instid1(VALU_DEP_2)
	v_add_nc_u32_e32 v2, v2, v4
	v_mul_hi_u32 v4, v0, v3
	s_delay_alu instid0(VALU_DEP_2)
	v_mul_lo_u32 v5, v0, v2
	v_mul_hi_u32 v8, v0, v2
	v_mul_hi_u32 v9, v1, v3
	v_mul_lo_u32 v3, v1, v3
	v_mul_hi_u32 v10, v1, v2
	v_mul_lo_u32 v2, v1, v2
	v_add_co_u32 v4, vcc_lo, v4, v5
	v_add_co_ci_u32_e32 v5, vcc_lo, 0, v8, vcc_lo
	s_delay_alu instid0(VALU_DEP_2) | instskip(NEXT) | instid1(VALU_DEP_2)
	v_add_co_u32 v3, vcc_lo, v4, v3
	v_add_co_ci_u32_e32 v3, vcc_lo, v5, v9, vcc_lo
	v_add_co_ci_u32_e32 v4, vcc_lo, 0, v10, vcc_lo
	s_delay_alu instid0(VALU_DEP_2) | instskip(NEXT) | instid1(VALU_DEP_2)
	v_add_co_u32 v2, vcc_lo, v3, v2
	v_add_co_ci_u32_e32 v3, vcc_lo, 0, v4, vcc_lo
	s_delay_alu instid0(VALU_DEP_2) | instskip(NEXT) | instid1(VALU_DEP_2)
	v_add_co_u32 v0, vcc_lo, v0, v2
	v_add_co_ci_u32_e32 v1, vcc_lo, v1, v3, vcc_lo
	s_delay_alu instid0(VALU_DEP_2) | instskip(SKIP_1) | instid1(VALU_DEP_3)
	v_mul_hi_u32 v2, s2, v0
	v_mul_lo_u32 v4, s5, v0
	v_mul_lo_u32 v3, s2, v1
	s_delay_alu instid0(VALU_DEP_1) | instskip(SKIP_1) | instid1(VALU_DEP_2)
	v_add_nc_u32_e32 v2, v2, v3
	v_mul_lo_u32 v3, s2, v0
	v_add_nc_u32_e32 v2, v2, v4
	s_delay_alu instid0(VALU_DEP_2) | instskip(NEXT) | instid1(VALU_DEP_2)
	v_mul_hi_u32 v4, v0, v3
	v_mul_lo_u32 v5, v0, v2
	v_mul_hi_u32 v8, v0, v2
	v_mul_hi_u32 v9, v1, v3
	v_mul_lo_u32 v3, v1, v3
	v_mul_hi_u32 v10, v1, v2
	v_mul_lo_u32 v2, v1, v2
	v_add_co_u32 v4, vcc_lo, v4, v5
	v_add_co_ci_u32_e32 v5, vcc_lo, 0, v8, vcc_lo
	s_delay_alu instid0(VALU_DEP_2) | instskip(NEXT) | instid1(VALU_DEP_2)
	v_add_co_u32 v3, vcc_lo, v4, v3
	v_add_co_ci_u32_e32 v3, vcc_lo, v5, v9, vcc_lo
	v_add_co_ci_u32_e32 v4, vcc_lo, 0, v10, vcc_lo
	s_delay_alu instid0(VALU_DEP_2) | instskip(NEXT) | instid1(VALU_DEP_2)
	v_add_co_u32 v2, vcc_lo, v3, v2
	v_add_co_ci_u32_e32 v3, vcc_lo, 0, v4, vcc_lo
	s_delay_alu instid0(VALU_DEP_2) | instskip(NEXT) | instid1(VALU_DEP_2)
	v_add_co_u32 v4, vcc_lo, v0, v2
	v_add_co_ci_u32_e32 v8, vcc_lo, v1, v3, vcc_lo
	s_delay_alu instid0(VALU_DEP_2) | instskip(SKIP_1) | instid1(VALU_DEP_3)
	v_mul_hi_u32 v9, v6, v4
	v_mad_u64_u32 v[2:3], null, v7, v4, 0
	v_mad_u64_u32 v[0:1], null, v6, v8, 0
	;; [unrolled: 1-line block ×3, first 2 shown]
	s_delay_alu instid0(VALU_DEP_2) | instskip(NEXT) | instid1(VALU_DEP_3)
	v_add_co_u32 v0, vcc_lo, v9, v0
	v_add_co_ci_u32_e32 v1, vcc_lo, 0, v1, vcc_lo
	s_delay_alu instid0(VALU_DEP_2) | instskip(NEXT) | instid1(VALU_DEP_2)
	v_add_co_u32 v0, vcc_lo, v0, v2
	v_add_co_ci_u32_e32 v0, vcc_lo, v1, v3, vcc_lo
	v_add_co_ci_u32_e32 v1, vcc_lo, 0, v5, vcc_lo
	s_delay_alu instid0(VALU_DEP_2) | instskip(NEXT) | instid1(VALU_DEP_2)
	v_add_co_u32 v2, vcc_lo, v0, v4
	v_add_co_ci_u32_e32 v3, vcc_lo, 0, v1, vcc_lo
	s_delay_alu instid0(VALU_DEP_2) | instskip(SKIP_1) | instid1(VALU_DEP_3)
	v_mul_lo_u32 v4, s7, v2
	v_mad_u64_u32 v[0:1], null, s6, v2, 0
	v_mul_lo_u32 v5, s6, v3
	s_delay_alu instid0(VALU_DEP_2) | instskip(NEXT) | instid1(VALU_DEP_2)
	v_sub_co_u32 v0, vcc_lo, v6, v0
	v_add3_u32 v1, v1, v5, v4
	s_delay_alu instid0(VALU_DEP_1) | instskip(NEXT) | instid1(VALU_DEP_1)
	v_sub_nc_u32_e32 v4, v7, v1
	v_subrev_co_ci_u32_e64 v4, s2, s7, v4, vcc_lo
	v_add_co_u32 v5, s2, v2, 2
	s_delay_alu instid0(VALU_DEP_1) | instskip(SKIP_3) | instid1(VALU_DEP_3)
	v_add_co_ci_u32_e64 v8, s2, 0, v3, s2
	v_sub_co_u32 v9, s2, v0, s6
	v_sub_co_ci_u32_e32 v1, vcc_lo, v7, v1, vcc_lo
	v_subrev_co_ci_u32_e64 v4, s2, 0, v4, s2
	v_cmp_le_u32_e32 vcc_lo, s6, v9
	s_delay_alu instid0(VALU_DEP_3) | instskip(SKIP_1) | instid1(VALU_DEP_4)
	v_cmp_eq_u32_e64 s2, s7, v1
	v_cndmask_b32_e64 v9, 0, -1, vcc_lo
	v_cmp_le_u32_e32 vcc_lo, s7, v4
	v_cndmask_b32_e64 v10, 0, -1, vcc_lo
	v_cmp_le_u32_e32 vcc_lo, s6, v0
	v_cndmask_b32_e64 v0, 0, -1, vcc_lo
	v_cmp_le_u32_e32 vcc_lo, s7, v1
	v_cndmask_b32_e64 v11, 0, -1, vcc_lo
	v_cmp_eq_u32_e32 vcc_lo, s7, v4
	s_delay_alu instid0(VALU_DEP_2) | instskip(SKIP_3) | instid1(VALU_DEP_3)
	v_cndmask_b32_e64 v0, v11, v0, s2
	v_cndmask_b32_e32 v4, v10, v9, vcc_lo
	v_add_co_u32 v9, vcc_lo, v2, 1
	v_add_co_ci_u32_e32 v10, vcc_lo, 0, v3, vcc_lo
	v_cmp_ne_u32_e32 vcc_lo, 0, v4
	s_delay_alu instid0(VALU_DEP_2) | instskip(SKIP_1) | instid1(VALU_DEP_2)
	v_dual_cndmask_b32 v1, v10, v8 :: v_dual_cndmask_b32 v4, v9, v5
	v_cmp_ne_u32_e32 vcc_lo, 0, v0
	v_dual_cndmask_b32 v0, v3, v1 :: v_dual_cndmask_b32 v1, v2, v4
	s_delay_alu instid0(VALU_DEP_1) | instskip(NEXT) | instid1(VALU_DEP_2)
	v_xor_b32_e32 v2, s4, v0
	v_xor_b32_e32 v1, s4, v1
	s_delay_alu instid0(VALU_DEP_1) | instskip(NEXT) | instid1(VALU_DEP_3)
	v_sub_co_u32 v0, vcc_lo, v1, s4
	v_subrev_co_ci_u32_e32 v1, vcc_lo, s4, v2, vcc_lo
.LBB2_3:
	s_and_not1_saveexec_b32 s2, s11
	s_cbranch_execz .LBB2_5
; %bb.4:
	v_cvt_f32_u32_e32 v0, s10
	s_sub_i32 s4, 0, s10
	s_delay_alu instid0(VALU_DEP_1) | instskip(SKIP_2) | instid1(VALU_DEP_1)
	v_rcp_iflag_f32_e32 v0, v0
	s_waitcnt_depctr 0xfff
	v_mul_f32_e32 v0, 0x4f7ffffe, v0
	v_cvt_u32_f32_e32 v0, v0
	s_delay_alu instid0(VALU_DEP_1) | instskip(NEXT) | instid1(VALU_DEP_1)
	v_mul_lo_u32 v1, s4, v0
	v_mul_hi_u32 v1, v0, v1
	s_delay_alu instid0(VALU_DEP_1) | instskip(NEXT) | instid1(VALU_DEP_1)
	v_add_nc_u32_e32 v0, v0, v1
	v_mul_hi_u32 v0, v6, v0
	s_delay_alu instid0(VALU_DEP_1) | instskip(SKIP_1) | instid1(VALU_DEP_2)
	v_mul_lo_u32 v1, v0, s10
	v_add_nc_u32_e32 v2, 1, v0
	v_sub_nc_u32_e32 v1, v6, v1
	s_delay_alu instid0(VALU_DEP_1) | instskip(SKIP_1) | instid1(VALU_DEP_2)
	v_subrev_nc_u32_e32 v3, s10, v1
	v_cmp_le_u32_e32 vcc_lo, s10, v1
	v_dual_cndmask_b32 v1, v1, v3 :: v_dual_cndmask_b32 v0, v0, v2
	s_delay_alu instid0(VALU_DEP_1) | instskip(NEXT) | instid1(VALU_DEP_2)
	v_cmp_le_u32_e32 vcc_lo, s10, v1
	v_dual_mov_b32 v1, 0 :: v_dual_add_nc_u32 v2, 1, v0
	s_delay_alu instid0(VALU_DEP_1)
	v_cndmask_b32_e32 v0, v0, v2, vcc_lo
.LBB2_5:
	s_or_b32 exec_lo, exec_lo, s2
	s_delay_alu instid0(VALU_DEP_1) | instskip(NEXT) | instid1(VALU_DEP_2)
	v_mul_lo_u32 v4, s9, v0
	v_mul_lo_u32 v5, s10, v1
	v_mad_u64_u32 v[2:3], null, s10, v0, 0
	s_delay_alu instid0(VALU_DEP_1) | instskip(NEXT) | instid1(VALU_DEP_2)
	v_add3_u32 v3, v3, v5, v4
	v_sub_co_u32 v2, vcc_lo, v6, v2
	v_mov_b32_e32 v4, 0
	s_delay_alu instid0(VALU_DEP_3) | instskip(NEXT) | instid1(VALU_DEP_1)
	v_sub_co_ci_u32_e32 v3, vcc_lo, v7, v3, vcc_lo
	v_or_b32_e32 v5, s8, v3
	s_delay_alu instid0(VALU_DEP_1) | instskip(SKIP_1) | instid1(SALU_CYCLE_1)
	v_cmp_ne_u64_e32 vcc_lo, 0, v[4:5]
                                        ; implicit-def: $vgpr4_vgpr5
	s_and_saveexec_b32 s2, vcc_lo
	s_xor_b32 s9, exec_lo, s2
	s_cbranch_execz .LBB2_7
; %bb.6:
	s_ashr_i32 s4, s8, 31
	s_delay_alu instid0(SALU_CYCLE_1) | instskip(SKIP_2) | instid1(SALU_CYCLE_1)
	s_add_u32 s6, s3, s4
	s_mov_b32 s5, s4
	s_addc_u32 s7, s8, s4
	s_xor_b64 s[6:7], s[6:7], s[4:5]
	s_delay_alu instid0(SALU_CYCLE_1) | instskip(SKIP_3) | instid1(VALU_DEP_1)
	v_cvt_f32_u32_e32 v4, s6
	v_cvt_f32_u32_e32 v5, s7
	s_sub_u32 s2, 0, s6
	s_subb_u32 s5, 0, s7
	v_fmamk_f32 v4, v5, 0x4f800000, v4
	s_delay_alu instid0(VALU_DEP_1) | instskip(SKIP_2) | instid1(VALU_DEP_1)
	v_rcp_f32_e32 v4, v4
	s_waitcnt_depctr 0xfff
	v_mul_f32_e32 v4, 0x5f7ffffc, v4
	v_mul_f32_e32 v5, 0x2f800000, v4
	s_delay_alu instid0(VALU_DEP_1) | instskip(NEXT) | instid1(VALU_DEP_1)
	v_trunc_f32_e32 v5, v5
	v_fmamk_f32 v4, v5, 0xcf800000, v4
	v_cvt_u32_f32_e32 v5, v5
	s_delay_alu instid0(VALU_DEP_2) | instskip(NEXT) | instid1(VALU_DEP_2)
	v_cvt_u32_f32_e32 v4, v4
	v_mul_lo_u32 v8, s2, v5
	s_delay_alu instid0(VALU_DEP_2) | instskip(SKIP_1) | instid1(VALU_DEP_2)
	v_mul_hi_u32 v9, s2, v4
	v_mul_lo_u32 v10, s5, v4
	v_add_nc_u32_e32 v8, v9, v8
	v_mul_lo_u32 v9, s2, v4
	s_delay_alu instid0(VALU_DEP_2) | instskip(NEXT) | instid1(VALU_DEP_2)
	v_add_nc_u32_e32 v8, v8, v10
	v_mul_hi_u32 v10, v4, v9
	s_delay_alu instid0(VALU_DEP_2)
	v_mul_lo_u32 v11, v4, v8
	v_mul_hi_u32 v12, v4, v8
	v_mul_hi_u32 v13, v5, v9
	v_mul_lo_u32 v9, v5, v9
	v_mul_hi_u32 v14, v5, v8
	v_mul_lo_u32 v8, v5, v8
	v_add_co_u32 v10, vcc_lo, v10, v11
	v_add_co_ci_u32_e32 v11, vcc_lo, 0, v12, vcc_lo
	s_delay_alu instid0(VALU_DEP_2) | instskip(NEXT) | instid1(VALU_DEP_2)
	v_add_co_u32 v9, vcc_lo, v10, v9
	v_add_co_ci_u32_e32 v9, vcc_lo, v11, v13, vcc_lo
	v_add_co_ci_u32_e32 v10, vcc_lo, 0, v14, vcc_lo
	v_ashrrev_i32_e32 v13, 31, v3
	s_delay_alu instid0(VALU_DEP_3) | instskip(NEXT) | instid1(VALU_DEP_3)
	v_add_co_u32 v8, vcc_lo, v9, v8
	v_add_co_ci_u32_e32 v9, vcc_lo, 0, v10, vcc_lo
	s_delay_alu instid0(VALU_DEP_2) | instskip(NEXT) | instid1(VALU_DEP_2)
	v_add_co_u32 v4, vcc_lo, v4, v8
	v_add_co_ci_u32_e32 v5, vcc_lo, v5, v9, vcc_lo
	s_delay_alu instid0(VALU_DEP_2) | instskip(SKIP_1) | instid1(VALU_DEP_3)
	v_mul_hi_u32 v8, s2, v4
	v_mul_lo_u32 v10, s5, v4
	v_mul_lo_u32 v9, s2, v5
	s_delay_alu instid0(VALU_DEP_1) | instskip(SKIP_1) | instid1(VALU_DEP_2)
	v_add_nc_u32_e32 v8, v8, v9
	v_mul_lo_u32 v9, s2, v4
	v_add_nc_u32_e32 v8, v8, v10
	s_delay_alu instid0(VALU_DEP_2) | instskip(NEXT) | instid1(VALU_DEP_2)
	v_mul_hi_u32 v10, v4, v9
	v_mul_lo_u32 v11, v4, v8
	v_mul_hi_u32 v12, v4, v8
	v_mul_hi_u32 v14, v5, v9
	v_mul_lo_u32 v9, v5, v9
	v_mul_hi_u32 v15, v5, v8
	v_mul_lo_u32 v8, v5, v8
	v_add_co_u32 v10, vcc_lo, v10, v11
	v_add_co_ci_u32_e32 v11, vcc_lo, 0, v12, vcc_lo
	s_delay_alu instid0(VALU_DEP_2) | instskip(NEXT) | instid1(VALU_DEP_2)
	v_add_co_u32 v9, vcc_lo, v10, v9
	v_add_co_ci_u32_e32 v9, vcc_lo, v11, v14, vcc_lo
	v_add_co_ci_u32_e32 v10, vcc_lo, 0, v15, vcc_lo
	v_add_co_u32 v11, vcc_lo, v2, v13
	v_add_co_ci_u32_e32 v12, vcc_lo, v3, v13, vcc_lo
	s_delay_alu instid0(VALU_DEP_4) | instskip(NEXT) | instid1(VALU_DEP_4)
	v_add_co_u32 v8, vcc_lo, v9, v8
	v_add_co_ci_u32_e32 v9, vcc_lo, 0, v10, vcc_lo
	s_delay_alu instid0(VALU_DEP_4) | instskip(NEXT) | instid1(VALU_DEP_3)
	v_xor_b32_e32 v14, v11, v13
	v_add_co_u32 v10, vcc_lo, v4, v8
	s_delay_alu instid0(VALU_DEP_3) | instskip(SKIP_1) | instid1(VALU_DEP_3)
	v_add_co_ci_u32_e32 v15, vcc_lo, v5, v9, vcc_lo
	v_xor_b32_e32 v12, v12, v13
	v_mul_hi_u32 v16, v14, v10
	s_delay_alu instid0(VALU_DEP_3) | instskip(NEXT) | instid1(VALU_DEP_3)
	v_mad_u64_u32 v[4:5], null, v14, v15, 0
	v_mad_u64_u32 v[8:9], null, v12, v10, 0
	;; [unrolled: 1-line block ×3, first 2 shown]
	s_delay_alu instid0(VALU_DEP_3) | instskip(NEXT) | instid1(VALU_DEP_4)
	v_add_co_u32 v4, vcc_lo, v16, v4
	v_add_co_ci_u32_e32 v5, vcc_lo, 0, v5, vcc_lo
	s_delay_alu instid0(VALU_DEP_2) | instskip(NEXT) | instid1(VALU_DEP_2)
	v_add_co_u32 v4, vcc_lo, v4, v8
	v_add_co_ci_u32_e32 v4, vcc_lo, v5, v9, vcc_lo
	v_add_co_ci_u32_e32 v5, vcc_lo, 0, v11, vcc_lo
	s_delay_alu instid0(VALU_DEP_2) | instskip(NEXT) | instid1(VALU_DEP_2)
	v_add_co_u32 v8, vcc_lo, v4, v10
	v_add_co_ci_u32_e32 v9, vcc_lo, 0, v5, vcc_lo
	s_delay_alu instid0(VALU_DEP_2) | instskip(SKIP_1) | instid1(VALU_DEP_3)
	v_mul_lo_u32 v10, s7, v8
	v_mad_u64_u32 v[4:5], null, s6, v8, 0
	v_mul_lo_u32 v11, s6, v9
	s_delay_alu instid0(VALU_DEP_2) | instskip(NEXT) | instid1(VALU_DEP_2)
	v_sub_co_u32 v4, vcc_lo, v14, v4
	v_add3_u32 v5, v5, v11, v10
	s_delay_alu instid0(VALU_DEP_1) | instskip(NEXT) | instid1(VALU_DEP_1)
	v_sub_nc_u32_e32 v10, v12, v5
	v_subrev_co_ci_u32_e64 v10, s2, s7, v10, vcc_lo
	v_add_co_u32 v11, s2, v8, 2
	s_delay_alu instid0(VALU_DEP_1) | instskip(SKIP_3) | instid1(VALU_DEP_3)
	v_add_co_ci_u32_e64 v14, s2, 0, v9, s2
	v_sub_co_u32 v15, s2, v4, s6
	v_sub_co_ci_u32_e32 v5, vcc_lo, v12, v5, vcc_lo
	v_subrev_co_ci_u32_e64 v10, s2, 0, v10, s2
	v_cmp_le_u32_e32 vcc_lo, s6, v15
	s_delay_alu instid0(VALU_DEP_3) | instskip(SKIP_1) | instid1(VALU_DEP_4)
	v_cmp_eq_u32_e64 s2, s7, v5
	v_cndmask_b32_e64 v12, 0, -1, vcc_lo
	v_cmp_le_u32_e32 vcc_lo, s7, v10
	v_cndmask_b32_e64 v15, 0, -1, vcc_lo
	v_cmp_le_u32_e32 vcc_lo, s6, v4
	;; [unrolled: 2-line block ×3, first 2 shown]
	v_cndmask_b32_e64 v16, 0, -1, vcc_lo
	v_cmp_eq_u32_e32 vcc_lo, s7, v10
	s_delay_alu instid0(VALU_DEP_2) | instskip(SKIP_3) | instid1(VALU_DEP_3)
	v_cndmask_b32_e64 v4, v16, v4, s2
	v_cndmask_b32_e32 v10, v15, v12, vcc_lo
	v_add_co_u32 v12, vcc_lo, v8, 1
	v_add_co_ci_u32_e32 v15, vcc_lo, 0, v9, vcc_lo
	v_cmp_ne_u32_e32 vcc_lo, 0, v10
	s_delay_alu instid0(VALU_DEP_2) | instskip(SKIP_2) | instid1(VALU_DEP_3)
	v_dual_cndmask_b32 v5, v15, v14 :: v_dual_cndmask_b32 v10, v12, v11
	v_cmp_ne_u32_e32 vcc_lo, 0, v4
	v_xor_b32_e32 v11, s4, v13
	v_dual_cndmask_b32 v4, v9, v5 :: v_dual_cndmask_b32 v5, v8, v10
	s_delay_alu instid0(VALU_DEP_1) | instskip(NEXT) | instid1(VALU_DEP_2)
	v_xor_b32_e32 v8, v4, v11
	v_xor_b32_e32 v5, v5, v11
	s_delay_alu instid0(VALU_DEP_1) | instskip(NEXT) | instid1(VALU_DEP_3)
	v_sub_co_u32 v4, vcc_lo, v5, v11
	v_sub_co_ci_u32_e32 v5, vcc_lo, v8, v11, vcc_lo
.LBB2_7:
	s_and_not1_saveexec_b32 s2, s9
	s_cbranch_execz .LBB2_9
; %bb.8:
	v_cvt_f32_u32_e32 v4, s3
	s_sub_i32 s4, 0, s3
	s_delay_alu instid0(VALU_DEP_1) | instskip(SKIP_2) | instid1(VALU_DEP_1)
	v_rcp_iflag_f32_e32 v4, v4
	s_waitcnt_depctr 0xfff
	v_mul_f32_e32 v4, 0x4f7ffffe, v4
	v_cvt_u32_f32_e32 v4, v4
	s_delay_alu instid0(VALU_DEP_1) | instskip(NEXT) | instid1(VALU_DEP_1)
	v_mul_lo_u32 v5, s4, v4
	v_mul_hi_u32 v5, v4, v5
	s_delay_alu instid0(VALU_DEP_1) | instskip(NEXT) | instid1(VALU_DEP_1)
	v_add_nc_u32_e32 v4, v4, v5
	v_mul_hi_u32 v4, v2, v4
	s_delay_alu instid0(VALU_DEP_1) | instskip(SKIP_1) | instid1(VALU_DEP_2)
	v_mul_lo_u32 v5, v4, s3
	v_add_nc_u32_e32 v8, 1, v4
	v_sub_nc_u32_e32 v5, v2, v5
	s_delay_alu instid0(VALU_DEP_1) | instskip(SKIP_1) | instid1(VALU_DEP_2)
	v_subrev_nc_u32_e32 v9, s3, v5
	v_cmp_le_u32_e32 vcc_lo, s3, v5
	v_dual_cndmask_b32 v5, v5, v9 :: v_dual_cndmask_b32 v4, v4, v8
	s_delay_alu instid0(VALU_DEP_1) | instskip(NEXT) | instid1(VALU_DEP_2)
	v_cmp_le_u32_e32 vcc_lo, s3, v5
	v_dual_mov_b32 v5, 0 :: v_dual_add_nc_u32 v8, 1, v4
	s_delay_alu instid0(VALU_DEP_1)
	v_cndmask_b32_e32 v4, v4, v8, vcc_lo
.LBB2_9:
	s_or_b32 exec_lo, exec_lo, s2
	s_delay_alu instid0(VALU_DEP_1) | instskip(NEXT) | instid1(VALU_DEP_2)
	v_mul_lo_u32 v10, s8, v4
	v_mul_lo_u32 v11, s3, v5
	v_mad_u64_u32 v[8:9], null, s3, v4, 0
	s_mov_b32 s2, exec_lo
	s_delay_alu instid0(VALU_DEP_1) | instskip(NEXT) | instid1(VALU_DEP_2)
	v_add3_u32 v9, v9, v11, v10
	v_sub_co_u32 v12, vcc_lo, v2, v8
	v_mov_b32_e32 v2, 0
	s_delay_alu instid0(VALU_DEP_3) | instskip(NEXT) | instid1(VALU_DEP_1)
	v_sub_co_ci_u32_e32 v13, vcc_lo, v3, v9, vcc_lo
                                        ; implicit-def: $vgpr8_vgpr9
	v_or_b32_e32 v3, s23, v13
	s_delay_alu instid0(VALU_DEP_1)
	v_cmpx_ne_u64_e32 0, v[2:3]
	s_xor_b32 s3, exec_lo, s2
	s_cbranch_execz .LBB2_11
; %bb.10:
	s_ashr_i32 s4, s23, 31
	s_delay_alu instid0(SALU_CYCLE_1) | instskip(SKIP_2) | instid1(SALU_CYCLE_1)
	s_add_u32 s6, s22, s4
	s_mov_b32 s5, s4
	s_addc_u32 s7, s23, s4
	s_xor_b64 s[6:7], s[6:7], s[4:5]
	s_delay_alu instid0(SALU_CYCLE_1) | instskip(SKIP_3) | instid1(VALU_DEP_1)
	v_cvt_f32_u32_e32 v2, s6
	v_cvt_f32_u32_e32 v3, s7
	s_sub_u32 s2, 0, s6
	s_subb_u32 s5, 0, s7
	v_fmamk_f32 v2, v3, 0x4f800000, v2
	s_delay_alu instid0(VALU_DEP_1) | instskip(SKIP_2) | instid1(VALU_DEP_1)
	v_rcp_f32_e32 v2, v2
	s_waitcnt_depctr 0xfff
	v_mul_f32_e32 v2, 0x5f7ffffc, v2
	v_mul_f32_e32 v3, 0x2f800000, v2
	s_delay_alu instid0(VALU_DEP_1) | instskip(NEXT) | instid1(VALU_DEP_1)
	v_trunc_f32_e32 v3, v3
	v_fmamk_f32 v2, v3, 0xcf800000, v2
	v_cvt_u32_f32_e32 v3, v3
	s_delay_alu instid0(VALU_DEP_2) | instskip(NEXT) | instid1(VALU_DEP_2)
	v_cvt_u32_f32_e32 v2, v2
	v_mul_lo_u32 v8, s2, v3
	s_delay_alu instid0(VALU_DEP_2) | instskip(SKIP_1) | instid1(VALU_DEP_2)
	v_mul_hi_u32 v9, s2, v2
	v_mul_lo_u32 v10, s5, v2
	v_add_nc_u32_e32 v8, v9, v8
	v_mul_lo_u32 v9, s2, v2
	s_delay_alu instid0(VALU_DEP_2) | instskip(NEXT) | instid1(VALU_DEP_2)
	v_add_nc_u32_e32 v8, v8, v10
	v_mul_hi_u32 v10, v2, v9
	s_delay_alu instid0(VALU_DEP_2)
	v_mul_lo_u32 v11, v2, v8
	v_mul_hi_u32 v14, v2, v8
	v_mul_hi_u32 v15, v3, v9
	v_mul_lo_u32 v9, v3, v9
	v_mul_hi_u32 v16, v3, v8
	v_mul_lo_u32 v8, v3, v8
	v_add_co_u32 v10, vcc_lo, v10, v11
	v_add_co_ci_u32_e32 v11, vcc_lo, 0, v14, vcc_lo
	s_delay_alu instid0(VALU_DEP_2) | instskip(NEXT) | instid1(VALU_DEP_2)
	v_add_co_u32 v9, vcc_lo, v10, v9
	v_add_co_ci_u32_e32 v9, vcc_lo, v11, v15, vcc_lo
	v_add_co_ci_u32_e32 v10, vcc_lo, 0, v16, vcc_lo
	v_ashrrev_i32_e32 v15, 31, v13
	s_delay_alu instid0(VALU_DEP_3) | instskip(NEXT) | instid1(VALU_DEP_3)
	v_add_co_u32 v8, vcc_lo, v9, v8
	v_add_co_ci_u32_e32 v9, vcc_lo, 0, v10, vcc_lo
	s_delay_alu instid0(VALU_DEP_2) | instskip(NEXT) | instid1(VALU_DEP_2)
	v_add_co_u32 v2, vcc_lo, v2, v8
	v_add_co_ci_u32_e32 v3, vcc_lo, v3, v9, vcc_lo
	s_delay_alu instid0(VALU_DEP_2) | instskip(SKIP_1) | instid1(VALU_DEP_3)
	v_mul_hi_u32 v8, s2, v2
	v_mul_lo_u32 v10, s5, v2
	v_mul_lo_u32 v9, s2, v3
	s_delay_alu instid0(VALU_DEP_1) | instskip(SKIP_1) | instid1(VALU_DEP_2)
	v_add_nc_u32_e32 v8, v8, v9
	v_mul_lo_u32 v9, s2, v2
	v_add_nc_u32_e32 v8, v8, v10
	s_delay_alu instid0(VALU_DEP_2) | instskip(NEXT) | instid1(VALU_DEP_2)
	v_mul_hi_u32 v10, v2, v9
	v_mul_lo_u32 v11, v2, v8
	v_mul_hi_u32 v14, v2, v8
	v_mul_hi_u32 v16, v3, v9
	v_mul_lo_u32 v9, v3, v9
	v_mul_hi_u32 v17, v3, v8
	v_mul_lo_u32 v8, v3, v8
	v_add_co_u32 v10, vcc_lo, v10, v11
	v_add_co_ci_u32_e32 v11, vcc_lo, 0, v14, vcc_lo
	s_delay_alu instid0(VALU_DEP_2) | instskip(NEXT) | instid1(VALU_DEP_2)
	v_add_co_u32 v9, vcc_lo, v10, v9
	v_add_co_ci_u32_e32 v9, vcc_lo, v11, v16, vcc_lo
	v_add_co_ci_u32_e32 v10, vcc_lo, 0, v17, vcc_lo
	v_add_co_u32 v11, vcc_lo, v12, v15
	v_add_co_ci_u32_e32 v14, vcc_lo, v13, v15, vcc_lo
	s_delay_alu instid0(VALU_DEP_4) | instskip(NEXT) | instid1(VALU_DEP_4)
	v_add_co_u32 v8, vcc_lo, v9, v8
	v_add_co_ci_u32_e32 v9, vcc_lo, 0, v10, vcc_lo
	s_delay_alu instid0(VALU_DEP_4) | instskip(NEXT) | instid1(VALU_DEP_3)
	v_xor_b32_e32 v16, v11, v15
	v_add_co_u32 v10, vcc_lo, v2, v8
	s_delay_alu instid0(VALU_DEP_3) | instskip(SKIP_1) | instid1(VALU_DEP_3)
	v_add_co_ci_u32_e32 v17, vcc_lo, v3, v9, vcc_lo
	v_xor_b32_e32 v14, v14, v15
	v_mul_hi_u32 v18, v16, v10
	s_delay_alu instid0(VALU_DEP_3) | instskip(NEXT) | instid1(VALU_DEP_3)
	v_mad_u64_u32 v[2:3], null, v16, v17, 0
	v_mad_u64_u32 v[8:9], null, v14, v10, 0
	;; [unrolled: 1-line block ×3, first 2 shown]
	s_delay_alu instid0(VALU_DEP_3) | instskip(NEXT) | instid1(VALU_DEP_4)
	v_add_co_u32 v2, vcc_lo, v18, v2
	v_add_co_ci_u32_e32 v3, vcc_lo, 0, v3, vcc_lo
	s_delay_alu instid0(VALU_DEP_2) | instskip(NEXT) | instid1(VALU_DEP_2)
	v_add_co_u32 v2, vcc_lo, v2, v8
	v_add_co_ci_u32_e32 v2, vcc_lo, v3, v9, vcc_lo
	v_add_co_ci_u32_e32 v3, vcc_lo, 0, v11, vcc_lo
	s_delay_alu instid0(VALU_DEP_2) | instskip(NEXT) | instid1(VALU_DEP_2)
	v_add_co_u32 v8, vcc_lo, v2, v10
	v_add_co_ci_u32_e32 v9, vcc_lo, 0, v3, vcc_lo
	s_delay_alu instid0(VALU_DEP_2) | instskip(SKIP_1) | instid1(VALU_DEP_3)
	v_mul_lo_u32 v10, s7, v8
	v_mad_u64_u32 v[2:3], null, s6, v8, 0
	v_mul_lo_u32 v11, s6, v9
	s_delay_alu instid0(VALU_DEP_2) | instskip(NEXT) | instid1(VALU_DEP_2)
	v_sub_co_u32 v2, vcc_lo, v16, v2
	v_add3_u32 v3, v3, v11, v10
	s_delay_alu instid0(VALU_DEP_1) | instskip(NEXT) | instid1(VALU_DEP_1)
	v_sub_nc_u32_e32 v10, v14, v3
	v_subrev_co_ci_u32_e64 v10, s2, s7, v10, vcc_lo
	v_add_co_u32 v11, s2, v8, 2
	s_delay_alu instid0(VALU_DEP_1) | instskip(SKIP_3) | instid1(VALU_DEP_3)
	v_add_co_ci_u32_e64 v16, s2, 0, v9, s2
	v_sub_co_u32 v17, s2, v2, s6
	v_sub_co_ci_u32_e32 v3, vcc_lo, v14, v3, vcc_lo
	v_subrev_co_ci_u32_e64 v10, s2, 0, v10, s2
	v_cmp_le_u32_e32 vcc_lo, s6, v17
	s_delay_alu instid0(VALU_DEP_3) | instskip(SKIP_1) | instid1(VALU_DEP_4)
	v_cmp_eq_u32_e64 s2, s7, v3
	v_cndmask_b32_e64 v14, 0, -1, vcc_lo
	v_cmp_le_u32_e32 vcc_lo, s7, v10
	v_cndmask_b32_e64 v17, 0, -1, vcc_lo
	v_cmp_le_u32_e32 vcc_lo, s6, v2
	;; [unrolled: 2-line block ×3, first 2 shown]
	v_cndmask_b32_e64 v18, 0, -1, vcc_lo
	v_cmp_eq_u32_e32 vcc_lo, s7, v10
	s_delay_alu instid0(VALU_DEP_2) | instskip(SKIP_3) | instid1(VALU_DEP_3)
	v_cndmask_b32_e64 v2, v18, v2, s2
	v_cndmask_b32_e32 v10, v17, v14, vcc_lo
	v_add_co_u32 v14, vcc_lo, v8, 1
	v_add_co_ci_u32_e32 v17, vcc_lo, 0, v9, vcc_lo
	v_cmp_ne_u32_e32 vcc_lo, 0, v10
	s_delay_alu instid0(VALU_DEP_2) | instskip(SKIP_2) | instid1(VALU_DEP_3)
	v_dual_cndmask_b32 v3, v17, v16 :: v_dual_cndmask_b32 v10, v14, v11
	v_cmp_ne_u32_e32 vcc_lo, 0, v2
	v_xor_b32_e32 v2, s4, v15
	v_dual_cndmask_b32 v8, v8, v10 :: v_dual_cndmask_b32 v3, v9, v3
	s_delay_alu instid0(VALU_DEP_1) | instskip(NEXT) | instid1(VALU_DEP_2)
	v_xor_b32_e32 v8, v8, v2
	v_xor_b32_e32 v3, v3, v2
	s_delay_alu instid0(VALU_DEP_2) | instskip(NEXT) | instid1(VALU_DEP_2)
	v_sub_co_u32 v8, vcc_lo, v8, v2
	v_sub_co_ci_u32_e32 v9, vcc_lo, v3, v2, vcc_lo
.LBB2_11:
	s_and_not1_saveexec_b32 s2, s3
	s_cbranch_execz .LBB2_13
; %bb.12:
	v_cvt_f32_u32_e32 v2, s22
	s_sub_i32 s3, 0, s22
	s_delay_alu instid0(VALU_DEP_1) | instskip(SKIP_2) | instid1(VALU_DEP_1)
	v_rcp_iflag_f32_e32 v2, v2
	s_waitcnt_depctr 0xfff
	v_mul_f32_e32 v2, 0x4f7ffffe, v2
	v_cvt_u32_f32_e32 v2, v2
	s_delay_alu instid0(VALU_DEP_1) | instskip(NEXT) | instid1(VALU_DEP_1)
	v_mul_lo_u32 v3, s3, v2
	v_mul_hi_u32 v3, v2, v3
	s_delay_alu instid0(VALU_DEP_1) | instskip(NEXT) | instid1(VALU_DEP_1)
	v_add_nc_u32_e32 v2, v2, v3
	v_mul_hi_u32 v2, v12, v2
	s_delay_alu instid0(VALU_DEP_1) | instskip(SKIP_1) | instid1(VALU_DEP_2)
	v_mul_lo_u32 v3, v2, s22
	v_add_nc_u32_e32 v8, 1, v2
	v_sub_nc_u32_e32 v3, v12, v3
	s_delay_alu instid0(VALU_DEP_1) | instskip(SKIP_1) | instid1(VALU_DEP_2)
	v_subrev_nc_u32_e32 v9, s22, v3
	v_cmp_le_u32_e32 vcc_lo, s22, v3
	v_cndmask_b32_e32 v3, v3, v9, vcc_lo
	v_dual_mov_b32 v9, 0 :: v_dual_cndmask_b32 v2, v2, v8
	s_delay_alu instid0(VALU_DEP_2) | instskip(NEXT) | instid1(VALU_DEP_2)
	v_cmp_le_u32_e32 vcc_lo, s22, v3
	v_add_nc_u32_e32 v8, 1, v2
	s_delay_alu instid0(VALU_DEP_1)
	v_cndmask_b32_e32 v8, v2, v8, vcc_lo
.LBB2_13:
	s_or_b32 exec_lo, exec_lo, s2
	s_load_b512 s[36:51], s[0:1], 0x40
	v_mov_b32_e32 v2, 0
	s_waitcnt lgkmcnt(0)
	s_mul_i32 s2, s42, s41
	s_mul_hi_u32 s4, s42, s40
	s_mul_i32 s5, s43, s40
	s_mul_i32 s3, s42, s40
	s_add_i32 s8, s4, s2
	s_mul_i32 s2, s3, s45
	s_mul_hi_u32 s4, s3, s44
	s_add_i32 s8, s8, s5
	s_add_i32 s2, s4, s2
	s_mul_i32 s4, s8, s44
	s_mul_i32 s10, s3, s44
	s_add_i32 s9, s2, s4
	s_delay_alu instid0(SALU_CYCLE_1) | instskip(NEXT) | instid1(VALU_DEP_1)
	v_or_b32_e32 v3, s9, v7
	v_cmp_ne_u64_e32 vcc_lo, 0, v[2:3]
                                        ; implicit-def: $vgpr2_vgpr3
	s_and_saveexec_b32 s2, vcc_lo
	s_delay_alu instid0(SALU_CYCLE_1)
	s_xor_b32 s11, exec_lo, s2
	s_cbranch_execz .LBB2_15
; %bb.14:
	s_ashr_i32 s4, s9, 31
	s_delay_alu instid0(SALU_CYCLE_1) | instskip(SKIP_2) | instid1(SALU_CYCLE_1)
	s_add_u32 s6, s10, s4
	s_mov_b32 s5, s4
	s_addc_u32 s7, s9, s4
	s_xor_b64 s[6:7], s[6:7], s[4:5]
	s_delay_alu instid0(SALU_CYCLE_1) | instskip(SKIP_3) | instid1(VALU_DEP_1)
	v_cvt_f32_u32_e32 v2, s6
	v_cvt_f32_u32_e32 v3, s7
	s_sub_u32 s2, 0, s6
	s_subb_u32 s5, 0, s7
	v_fmamk_f32 v2, v3, 0x4f800000, v2
	s_delay_alu instid0(VALU_DEP_1) | instskip(SKIP_2) | instid1(VALU_DEP_1)
	v_rcp_f32_e32 v2, v2
	s_waitcnt_depctr 0xfff
	v_mul_f32_e32 v2, 0x5f7ffffc, v2
	v_mul_f32_e32 v3, 0x2f800000, v2
	s_delay_alu instid0(VALU_DEP_1) | instskip(NEXT) | instid1(VALU_DEP_1)
	v_trunc_f32_e32 v3, v3
	v_fmamk_f32 v2, v3, 0xcf800000, v2
	v_cvt_u32_f32_e32 v3, v3
	s_delay_alu instid0(VALU_DEP_2) | instskip(NEXT) | instid1(VALU_DEP_2)
	v_cvt_u32_f32_e32 v2, v2
	v_mul_lo_u32 v10, s2, v3
	s_delay_alu instid0(VALU_DEP_2) | instskip(SKIP_1) | instid1(VALU_DEP_2)
	v_mul_hi_u32 v11, s2, v2
	v_mul_lo_u32 v14, s5, v2
	v_add_nc_u32_e32 v10, v11, v10
	v_mul_lo_u32 v11, s2, v2
	s_delay_alu instid0(VALU_DEP_2) | instskip(NEXT) | instid1(VALU_DEP_2)
	v_add_nc_u32_e32 v10, v10, v14
	v_mul_hi_u32 v14, v2, v11
	s_delay_alu instid0(VALU_DEP_2)
	v_mul_lo_u32 v15, v2, v10
	v_mul_hi_u32 v16, v2, v10
	v_mul_hi_u32 v17, v3, v11
	v_mul_lo_u32 v11, v3, v11
	v_mul_hi_u32 v18, v3, v10
	v_mul_lo_u32 v10, v3, v10
	v_add_co_u32 v14, vcc_lo, v14, v15
	v_add_co_ci_u32_e32 v15, vcc_lo, 0, v16, vcc_lo
	s_delay_alu instid0(VALU_DEP_2) | instskip(NEXT) | instid1(VALU_DEP_2)
	v_add_co_u32 v11, vcc_lo, v14, v11
	v_add_co_ci_u32_e32 v11, vcc_lo, v15, v17, vcc_lo
	v_add_co_ci_u32_e32 v14, vcc_lo, 0, v18, vcc_lo
	s_delay_alu instid0(VALU_DEP_2) | instskip(NEXT) | instid1(VALU_DEP_2)
	v_add_co_u32 v10, vcc_lo, v11, v10
	v_add_co_ci_u32_e32 v11, vcc_lo, 0, v14, vcc_lo
	s_delay_alu instid0(VALU_DEP_2) | instskip(NEXT) | instid1(VALU_DEP_2)
	v_add_co_u32 v2, vcc_lo, v2, v10
	v_add_co_ci_u32_e32 v3, vcc_lo, v3, v11, vcc_lo
	s_delay_alu instid0(VALU_DEP_2) | instskip(SKIP_1) | instid1(VALU_DEP_3)
	v_mul_hi_u32 v10, s2, v2
	v_mul_lo_u32 v14, s5, v2
	v_mul_lo_u32 v11, s2, v3
	s_delay_alu instid0(VALU_DEP_1) | instskip(SKIP_1) | instid1(VALU_DEP_2)
	v_add_nc_u32_e32 v10, v10, v11
	v_mul_lo_u32 v11, s2, v2
	v_add_nc_u32_e32 v10, v10, v14
	s_delay_alu instid0(VALU_DEP_2) | instskip(NEXT) | instid1(VALU_DEP_2)
	v_mul_hi_u32 v14, v2, v11
	v_mul_lo_u32 v15, v2, v10
	v_mul_hi_u32 v16, v2, v10
	v_mul_hi_u32 v17, v3, v11
	v_mul_lo_u32 v11, v3, v11
	v_mul_hi_u32 v18, v3, v10
	v_mul_lo_u32 v10, v3, v10
	v_add_co_u32 v14, vcc_lo, v14, v15
	v_add_co_ci_u32_e32 v15, vcc_lo, 0, v16, vcc_lo
	s_delay_alu instid0(VALU_DEP_2) | instskip(NEXT) | instid1(VALU_DEP_2)
	v_add_co_u32 v11, vcc_lo, v14, v11
	v_add_co_ci_u32_e32 v11, vcc_lo, v15, v17, vcc_lo
	v_add_co_ci_u32_e32 v14, vcc_lo, 0, v18, vcc_lo
	s_delay_alu instid0(VALU_DEP_2) | instskip(NEXT) | instid1(VALU_DEP_2)
	v_add_co_u32 v10, vcc_lo, v11, v10
	v_add_co_ci_u32_e32 v11, vcc_lo, 0, v14, vcc_lo
	s_delay_alu instid0(VALU_DEP_2) | instskip(NEXT) | instid1(VALU_DEP_2)
	v_add_co_u32 v14, vcc_lo, v2, v10
	v_add_co_ci_u32_e32 v16, vcc_lo, v3, v11, vcc_lo
	s_delay_alu instid0(VALU_DEP_2) | instskip(SKIP_1) | instid1(VALU_DEP_3)
	v_mul_hi_u32 v17, v6, v14
	v_mad_u64_u32 v[10:11], null, v7, v14, 0
	v_mad_u64_u32 v[2:3], null, v6, v16, 0
	;; [unrolled: 1-line block ×3, first 2 shown]
	s_delay_alu instid0(VALU_DEP_2) | instskip(NEXT) | instid1(VALU_DEP_3)
	v_add_co_u32 v2, vcc_lo, v17, v2
	v_add_co_ci_u32_e32 v3, vcc_lo, 0, v3, vcc_lo
	s_delay_alu instid0(VALU_DEP_2) | instskip(NEXT) | instid1(VALU_DEP_2)
	v_add_co_u32 v2, vcc_lo, v2, v10
	v_add_co_ci_u32_e32 v2, vcc_lo, v3, v11, vcc_lo
	v_add_co_ci_u32_e32 v3, vcc_lo, 0, v15, vcc_lo
	s_delay_alu instid0(VALU_DEP_2) | instskip(NEXT) | instid1(VALU_DEP_2)
	v_add_co_u32 v10, vcc_lo, v2, v14
	v_add_co_ci_u32_e32 v11, vcc_lo, 0, v3, vcc_lo
	s_delay_alu instid0(VALU_DEP_2) | instskip(SKIP_1) | instid1(VALU_DEP_3)
	v_mul_lo_u32 v14, s7, v10
	v_mad_u64_u32 v[2:3], null, s6, v10, 0
	v_mul_lo_u32 v15, s6, v11
	s_delay_alu instid0(VALU_DEP_2) | instskip(NEXT) | instid1(VALU_DEP_2)
	v_sub_co_u32 v2, vcc_lo, v6, v2
	v_add3_u32 v3, v3, v15, v14
	s_delay_alu instid0(VALU_DEP_1) | instskip(NEXT) | instid1(VALU_DEP_1)
	v_sub_nc_u32_e32 v14, v7, v3
	v_subrev_co_ci_u32_e64 v14, s2, s7, v14, vcc_lo
	v_add_co_u32 v15, s2, v10, 2
	s_delay_alu instid0(VALU_DEP_1) | instskip(SKIP_3) | instid1(VALU_DEP_3)
	v_add_co_ci_u32_e64 v16, s2, 0, v11, s2
	v_sub_co_u32 v17, s2, v2, s6
	v_sub_co_ci_u32_e32 v3, vcc_lo, v7, v3, vcc_lo
	v_subrev_co_ci_u32_e64 v14, s2, 0, v14, s2
	v_cmp_le_u32_e32 vcc_lo, s6, v17
	s_delay_alu instid0(VALU_DEP_3) | instskip(SKIP_1) | instid1(VALU_DEP_4)
	v_cmp_eq_u32_e64 s2, s7, v3
	v_cndmask_b32_e64 v17, 0, -1, vcc_lo
	v_cmp_le_u32_e32 vcc_lo, s7, v14
	v_cndmask_b32_e64 v18, 0, -1, vcc_lo
	v_cmp_le_u32_e32 vcc_lo, s6, v2
	v_cndmask_b32_e64 v2, 0, -1, vcc_lo
	v_cmp_le_u32_e32 vcc_lo, s7, v3
	v_cndmask_b32_e64 v19, 0, -1, vcc_lo
	v_cmp_eq_u32_e32 vcc_lo, s7, v14
	s_delay_alu instid0(VALU_DEP_2) | instskip(SKIP_3) | instid1(VALU_DEP_3)
	v_cndmask_b32_e64 v2, v19, v2, s2
	v_cndmask_b32_e32 v14, v18, v17, vcc_lo
	v_add_co_u32 v17, vcc_lo, v10, 1
	v_add_co_ci_u32_e32 v18, vcc_lo, 0, v11, vcc_lo
	v_cmp_ne_u32_e32 vcc_lo, 0, v14
	s_delay_alu instid0(VALU_DEP_2) | instskip(SKIP_1) | instid1(VALU_DEP_2)
	v_dual_cndmask_b32 v3, v18, v16 :: v_dual_cndmask_b32 v14, v17, v15
	v_cmp_ne_u32_e32 vcc_lo, 0, v2
	v_dual_cndmask_b32 v2, v11, v3 :: v_dual_cndmask_b32 v3, v10, v14
	s_delay_alu instid0(VALU_DEP_1) | instskip(NEXT) | instid1(VALU_DEP_2)
	v_xor_b32_e32 v10, s4, v2
	v_xor_b32_e32 v3, s4, v3
	s_delay_alu instid0(VALU_DEP_1) | instskip(NEXT) | instid1(VALU_DEP_3)
	v_sub_co_u32 v2, vcc_lo, v3, s4
	v_subrev_co_ci_u32_e32 v3, vcc_lo, s4, v10, vcc_lo
.LBB2_15:
	s_and_not1_saveexec_b32 s2, s11
	s_cbranch_execz .LBB2_17
; %bb.16:
	v_cvt_f32_u32_e32 v2, s10
	s_sub_i32 s4, 0, s10
	s_delay_alu instid0(VALU_DEP_1) | instskip(SKIP_2) | instid1(VALU_DEP_1)
	v_rcp_iflag_f32_e32 v2, v2
	s_waitcnt_depctr 0xfff
	v_mul_f32_e32 v2, 0x4f7ffffe, v2
	v_cvt_u32_f32_e32 v2, v2
	s_delay_alu instid0(VALU_DEP_1) | instskip(NEXT) | instid1(VALU_DEP_1)
	v_mul_lo_u32 v3, s4, v2
	v_mul_hi_u32 v3, v2, v3
	s_delay_alu instid0(VALU_DEP_1) | instskip(NEXT) | instid1(VALU_DEP_1)
	v_add_nc_u32_e32 v2, v2, v3
	v_mul_hi_u32 v2, v6, v2
	s_delay_alu instid0(VALU_DEP_1) | instskip(SKIP_1) | instid1(VALU_DEP_2)
	v_mul_lo_u32 v3, v2, s10
	v_add_nc_u32_e32 v10, 1, v2
	v_sub_nc_u32_e32 v3, v6, v3
	s_delay_alu instid0(VALU_DEP_1) | instskip(SKIP_1) | instid1(VALU_DEP_2)
	v_subrev_nc_u32_e32 v11, s10, v3
	v_cmp_le_u32_e32 vcc_lo, s10, v3
	v_dual_cndmask_b32 v3, v3, v11 :: v_dual_cndmask_b32 v2, v2, v10
	s_delay_alu instid0(VALU_DEP_1) | instskip(NEXT) | instid1(VALU_DEP_2)
	v_cmp_le_u32_e32 vcc_lo, s10, v3
	v_dual_mov_b32 v3, 0 :: v_dual_add_nc_u32 v10, 1, v2
	s_delay_alu instid0(VALU_DEP_1)
	v_cndmask_b32_e32 v2, v2, v10, vcc_lo
.LBB2_17:
	s_or_b32 exec_lo, exec_lo, s2
	s_delay_alu instid0(VALU_DEP_1) | instskip(NEXT) | instid1(VALU_DEP_2)
	v_mul_lo_u32 v14, s9, v2
	v_mul_lo_u32 v15, s10, v3
	v_mad_u64_u32 v[10:11], null, s10, v2, 0
	s_delay_alu instid0(VALU_DEP_1) | instskip(NEXT) | instid1(VALU_DEP_2)
	v_add3_u32 v11, v11, v15, v14
	v_sub_co_u32 v10, vcc_lo, v6, v10
	v_mov_b32_e32 v6, 0
	s_delay_alu instid0(VALU_DEP_3) | instskip(NEXT) | instid1(VALU_DEP_1)
	v_sub_co_ci_u32_e32 v11, vcc_lo, v7, v11, vcc_lo
	v_or_b32_e32 v7, s8, v11
	s_delay_alu instid0(VALU_DEP_1) | instskip(SKIP_1) | instid1(SALU_CYCLE_1)
	v_cmp_ne_u64_e32 vcc_lo, 0, v[6:7]
                                        ; implicit-def: $vgpr6_vgpr7
	s_and_saveexec_b32 s2, vcc_lo
	s_xor_b32 s9, exec_lo, s2
	s_cbranch_execz .LBB2_19
; %bb.18:
	s_ashr_i32 s4, s8, 31
	s_delay_alu instid0(SALU_CYCLE_1) | instskip(SKIP_2) | instid1(SALU_CYCLE_1)
	s_add_u32 s6, s3, s4
	s_mov_b32 s5, s4
	s_addc_u32 s7, s8, s4
	s_xor_b64 s[6:7], s[6:7], s[4:5]
	s_delay_alu instid0(SALU_CYCLE_1) | instskip(SKIP_3) | instid1(VALU_DEP_1)
	v_cvt_f32_u32_e32 v6, s6
	v_cvt_f32_u32_e32 v7, s7
	s_sub_u32 s2, 0, s6
	s_subb_u32 s5, 0, s7
	v_fmamk_f32 v6, v7, 0x4f800000, v6
	s_delay_alu instid0(VALU_DEP_1) | instskip(SKIP_2) | instid1(VALU_DEP_1)
	v_rcp_f32_e32 v6, v6
	s_waitcnt_depctr 0xfff
	v_mul_f32_e32 v6, 0x5f7ffffc, v6
	v_mul_f32_e32 v7, 0x2f800000, v6
	s_delay_alu instid0(VALU_DEP_1) | instskip(NEXT) | instid1(VALU_DEP_1)
	v_trunc_f32_e32 v7, v7
	v_fmamk_f32 v6, v7, 0xcf800000, v6
	v_cvt_u32_f32_e32 v7, v7
	s_delay_alu instid0(VALU_DEP_2) | instskip(NEXT) | instid1(VALU_DEP_2)
	v_cvt_u32_f32_e32 v6, v6
	v_mul_lo_u32 v14, s2, v7
	s_delay_alu instid0(VALU_DEP_2) | instskip(SKIP_1) | instid1(VALU_DEP_2)
	v_mul_hi_u32 v15, s2, v6
	v_mul_lo_u32 v16, s5, v6
	v_add_nc_u32_e32 v14, v15, v14
	v_mul_lo_u32 v15, s2, v6
	s_delay_alu instid0(VALU_DEP_2) | instskip(NEXT) | instid1(VALU_DEP_2)
	v_add_nc_u32_e32 v14, v14, v16
	v_mul_hi_u32 v16, v6, v15
	s_delay_alu instid0(VALU_DEP_2)
	v_mul_lo_u32 v17, v6, v14
	v_mul_hi_u32 v18, v6, v14
	v_mul_hi_u32 v19, v7, v15
	v_mul_lo_u32 v15, v7, v15
	v_mul_hi_u32 v20, v7, v14
	v_mul_lo_u32 v14, v7, v14
	v_add_co_u32 v16, vcc_lo, v16, v17
	v_add_co_ci_u32_e32 v17, vcc_lo, 0, v18, vcc_lo
	s_delay_alu instid0(VALU_DEP_2) | instskip(NEXT) | instid1(VALU_DEP_2)
	v_add_co_u32 v15, vcc_lo, v16, v15
	v_add_co_ci_u32_e32 v15, vcc_lo, v17, v19, vcc_lo
	v_add_co_ci_u32_e32 v16, vcc_lo, 0, v20, vcc_lo
	v_ashrrev_i32_e32 v19, 31, v11
	s_delay_alu instid0(VALU_DEP_3) | instskip(NEXT) | instid1(VALU_DEP_3)
	v_add_co_u32 v14, vcc_lo, v15, v14
	v_add_co_ci_u32_e32 v15, vcc_lo, 0, v16, vcc_lo
	s_delay_alu instid0(VALU_DEP_2) | instskip(NEXT) | instid1(VALU_DEP_2)
	v_add_co_u32 v6, vcc_lo, v6, v14
	v_add_co_ci_u32_e32 v7, vcc_lo, v7, v15, vcc_lo
	s_delay_alu instid0(VALU_DEP_2) | instskip(SKIP_1) | instid1(VALU_DEP_3)
	v_mul_hi_u32 v14, s2, v6
	v_mul_lo_u32 v16, s5, v6
	v_mul_lo_u32 v15, s2, v7
	s_delay_alu instid0(VALU_DEP_1) | instskip(SKIP_1) | instid1(VALU_DEP_2)
	v_add_nc_u32_e32 v14, v14, v15
	v_mul_lo_u32 v15, s2, v6
	v_add_nc_u32_e32 v14, v14, v16
	s_delay_alu instid0(VALU_DEP_2) | instskip(NEXT) | instid1(VALU_DEP_2)
	v_mul_hi_u32 v16, v6, v15
	v_mul_lo_u32 v17, v6, v14
	v_mul_hi_u32 v18, v6, v14
	v_mul_hi_u32 v20, v7, v15
	v_mul_lo_u32 v15, v7, v15
	v_mul_hi_u32 v21, v7, v14
	v_mul_lo_u32 v14, v7, v14
	v_add_co_u32 v16, vcc_lo, v16, v17
	v_add_co_ci_u32_e32 v17, vcc_lo, 0, v18, vcc_lo
	s_delay_alu instid0(VALU_DEP_2) | instskip(NEXT) | instid1(VALU_DEP_2)
	v_add_co_u32 v15, vcc_lo, v16, v15
	v_add_co_ci_u32_e32 v15, vcc_lo, v17, v20, vcc_lo
	v_add_co_ci_u32_e32 v16, vcc_lo, 0, v21, vcc_lo
	v_add_co_u32 v17, vcc_lo, v10, v19
	v_add_co_ci_u32_e32 v18, vcc_lo, v11, v19, vcc_lo
	s_delay_alu instid0(VALU_DEP_4) | instskip(NEXT) | instid1(VALU_DEP_4)
	v_add_co_u32 v14, vcc_lo, v15, v14
	v_add_co_ci_u32_e32 v15, vcc_lo, 0, v16, vcc_lo
	s_delay_alu instid0(VALU_DEP_4) | instskip(NEXT) | instid1(VALU_DEP_3)
	v_xor_b32_e32 v20, v17, v19
	v_add_co_u32 v16, vcc_lo, v6, v14
	s_delay_alu instid0(VALU_DEP_3) | instskip(SKIP_1) | instid1(VALU_DEP_3)
	v_add_co_ci_u32_e32 v21, vcc_lo, v7, v15, vcc_lo
	v_xor_b32_e32 v18, v18, v19
	v_mul_hi_u32 v22, v20, v16
	s_delay_alu instid0(VALU_DEP_3) | instskip(NEXT) | instid1(VALU_DEP_3)
	v_mad_u64_u32 v[6:7], null, v20, v21, 0
	v_mad_u64_u32 v[14:15], null, v18, v16, 0
	;; [unrolled: 1-line block ×3, first 2 shown]
	s_delay_alu instid0(VALU_DEP_3) | instskip(NEXT) | instid1(VALU_DEP_4)
	v_add_co_u32 v6, vcc_lo, v22, v6
	v_add_co_ci_u32_e32 v7, vcc_lo, 0, v7, vcc_lo
	s_delay_alu instid0(VALU_DEP_2) | instskip(NEXT) | instid1(VALU_DEP_2)
	v_add_co_u32 v6, vcc_lo, v6, v14
	v_add_co_ci_u32_e32 v6, vcc_lo, v7, v15, vcc_lo
	v_add_co_ci_u32_e32 v7, vcc_lo, 0, v17, vcc_lo
	s_delay_alu instid0(VALU_DEP_2) | instskip(NEXT) | instid1(VALU_DEP_2)
	v_add_co_u32 v14, vcc_lo, v6, v16
	v_add_co_ci_u32_e32 v15, vcc_lo, 0, v7, vcc_lo
	s_delay_alu instid0(VALU_DEP_2) | instskip(SKIP_1) | instid1(VALU_DEP_3)
	v_mul_lo_u32 v16, s7, v14
	v_mad_u64_u32 v[6:7], null, s6, v14, 0
	v_mul_lo_u32 v17, s6, v15
	s_delay_alu instid0(VALU_DEP_2) | instskip(NEXT) | instid1(VALU_DEP_2)
	v_sub_co_u32 v6, vcc_lo, v20, v6
	v_add3_u32 v7, v7, v17, v16
	s_delay_alu instid0(VALU_DEP_1) | instskip(NEXT) | instid1(VALU_DEP_1)
	v_sub_nc_u32_e32 v16, v18, v7
	v_subrev_co_ci_u32_e64 v16, s2, s7, v16, vcc_lo
	v_add_co_u32 v17, s2, v14, 2
	s_delay_alu instid0(VALU_DEP_1) | instskip(SKIP_3) | instid1(VALU_DEP_3)
	v_add_co_ci_u32_e64 v20, s2, 0, v15, s2
	v_sub_co_u32 v21, s2, v6, s6
	v_sub_co_ci_u32_e32 v7, vcc_lo, v18, v7, vcc_lo
	v_subrev_co_ci_u32_e64 v16, s2, 0, v16, s2
	v_cmp_le_u32_e32 vcc_lo, s6, v21
	s_delay_alu instid0(VALU_DEP_3) | instskip(SKIP_1) | instid1(VALU_DEP_4)
	v_cmp_eq_u32_e64 s2, s7, v7
	v_cndmask_b32_e64 v18, 0, -1, vcc_lo
	v_cmp_le_u32_e32 vcc_lo, s7, v16
	v_cndmask_b32_e64 v21, 0, -1, vcc_lo
	v_cmp_le_u32_e32 vcc_lo, s6, v6
	v_cndmask_b32_e64 v6, 0, -1, vcc_lo
	v_cmp_le_u32_e32 vcc_lo, s7, v7
	v_cndmask_b32_e64 v22, 0, -1, vcc_lo
	v_cmp_eq_u32_e32 vcc_lo, s7, v16
	s_delay_alu instid0(VALU_DEP_2) | instskip(SKIP_3) | instid1(VALU_DEP_3)
	v_cndmask_b32_e64 v6, v22, v6, s2
	v_cndmask_b32_e32 v16, v21, v18, vcc_lo
	v_add_co_u32 v18, vcc_lo, v14, 1
	v_add_co_ci_u32_e32 v21, vcc_lo, 0, v15, vcc_lo
	v_cmp_ne_u32_e32 vcc_lo, 0, v16
	s_delay_alu instid0(VALU_DEP_2) | instskip(SKIP_2) | instid1(VALU_DEP_3)
	v_dual_cndmask_b32 v7, v21, v20 :: v_dual_cndmask_b32 v16, v18, v17
	v_cmp_ne_u32_e32 vcc_lo, 0, v6
	v_xor_b32_e32 v17, s4, v19
	v_dual_cndmask_b32 v6, v15, v7 :: v_dual_cndmask_b32 v7, v14, v16
	s_delay_alu instid0(VALU_DEP_1) | instskip(NEXT) | instid1(VALU_DEP_2)
	v_xor_b32_e32 v14, v6, v17
	v_xor_b32_e32 v7, v7, v17
	s_delay_alu instid0(VALU_DEP_1) | instskip(NEXT) | instid1(VALU_DEP_3)
	v_sub_co_u32 v6, vcc_lo, v7, v17
	v_sub_co_ci_u32_e32 v7, vcc_lo, v14, v17, vcc_lo
.LBB2_19:
	s_and_not1_saveexec_b32 s2, s9
	s_cbranch_execz .LBB2_21
; %bb.20:
	v_cvt_f32_u32_e32 v6, s3
	s_sub_i32 s4, 0, s3
	s_delay_alu instid0(VALU_DEP_1) | instskip(SKIP_2) | instid1(VALU_DEP_1)
	v_rcp_iflag_f32_e32 v6, v6
	s_waitcnt_depctr 0xfff
	v_mul_f32_e32 v6, 0x4f7ffffe, v6
	v_cvt_u32_f32_e32 v6, v6
	s_delay_alu instid0(VALU_DEP_1) | instskip(NEXT) | instid1(VALU_DEP_1)
	v_mul_lo_u32 v7, s4, v6
	v_mul_hi_u32 v7, v6, v7
	s_delay_alu instid0(VALU_DEP_1) | instskip(NEXT) | instid1(VALU_DEP_1)
	v_add_nc_u32_e32 v6, v6, v7
	v_mul_hi_u32 v6, v10, v6
	s_delay_alu instid0(VALU_DEP_1) | instskip(SKIP_1) | instid1(VALU_DEP_2)
	v_mul_lo_u32 v7, v6, s3
	v_add_nc_u32_e32 v14, 1, v6
	v_sub_nc_u32_e32 v7, v10, v7
	s_delay_alu instid0(VALU_DEP_1) | instskip(SKIP_1) | instid1(VALU_DEP_2)
	v_subrev_nc_u32_e32 v15, s3, v7
	v_cmp_le_u32_e32 vcc_lo, s3, v7
	v_dual_cndmask_b32 v7, v7, v15 :: v_dual_cndmask_b32 v6, v6, v14
	s_delay_alu instid0(VALU_DEP_1) | instskip(NEXT) | instid1(VALU_DEP_2)
	v_cmp_le_u32_e32 vcc_lo, s3, v7
	v_dual_mov_b32 v7, 0 :: v_dual_add_nc_u32 v14, 1, v6
	s_delay_alu instid0(VALU_DEP_1)
	v_cndmask_b32_e32 v6, v6, v14, vcc_lo
.LBB2_21:
	s_or_b32 exec_lo, exec_lo, s2
	s_delay_alu instid0(VALU_DEP_1) | instskip(NEXT) | instid1(VALU_DEP_2)
	v_mul_lo_u32 v16, s8, v6
	v_mul_lo_u32 v17, s3, v7
	v_mad_u64_u32 v[14:15], null, s3, v6, 0
	s_delay_alu instid0(VALU_DEP_1) | instskip(NEXT) | instid1(VALU_DEP_2)
	v_add3_u32 v15, v15, v17, v16
	v_sub_co_u32 v14, vcc_lo, v10, v14
	v_mov_b32_e32 v10, 0
	s_delay_alu instid0(VALU_DEP_3) | instskip(NEXT) | instid1(VALU_DEP_1)
	v_sub_co_ci_u32_e32 v15, vcc_lo, v11, v15, vcc_lo
	v_or_b32_e32 v11, s41, v15
	s_delay_alu instid0(VALU_DEP_1) | instskip(SKIP_1) | instid1(SALU_CYCLE_1)
	v_cmp_ne_u64_e32 vcc_lo, 0, v[10:11]
                                        ; implicit-def: $vgpr10_vgpr11
	s_and_saveexec_b32 s2, vcc_lo
	s_xor_b32 s3, exec_lo, s2
	s_cbranch_execz .LBB2_23
; %bb.22:
	s_ashr_i32 s4, s41, 31
	s_delay_alu instid0(SALU_CYCLE_1) | instskip(SKIP_2) | instid1(SALU_CYCLE_1)
	s_add_u32 s6, s40, s4
	s_mov_b32 s5, s4
	s_addc_u32 s7, s41, s4
	s_xor_b64 s[6:7], s[6:7], s[4:5]
	s_delay_alu instid0(SALU_CYCLE_1) | instskip(SKIP_3) | instid1(VALU_DEP_1)
	v_cvt_f32_u32_e32 v10, s6
	v_cvt_f32_u32_e32 v11, s7
	s_sub_u32 s2, 0, s6
	s_subb_u32 s5, 0, s7
	v_fmamk_f32 v10, v11, 0x4f800000, v10
	s_delay_alu instid0(VALU_DEP_1) | instskip(SKIP_2) | instid1(VALU_DEP_1)
	v_rcp_f32_e32 v10, v10
	s_waitcnt_depctr 0xfff
	v_mul_f32_e32 v10, 0x5f7ffffc, v10
	v_mul_f32_e32 v11, 0x2f800000, v10
	s_delay_alu instid0(VALU_DEP_1) | instskip(NEXT) | instid1(VALU_DEP_1)
	v_trunc_f32_e32 v11, v11
	v_fmamk_f32 v10, v11, 0xcf800000, v10
	v_cvt_u32_f32_e32 v11, v11
	s_delay_alu instid0(VALU_DEP_2) | instskip(NEXT) | instid1(VALU_DEP_2)
	v_cvt_u32_f32_e32 v10, v10
	v_mul_lo_u32 v16, s2, v11
	s_delay_alu instid0(VALU_DEP_2) | instskip(SKIP_1) | instid1(VALU_DEP_2)
	v_mul_hi_u32 v17, s2, v10
	v_mul_lo_u32 v18, s5, v10
	v_add_nc_u32_e32 v16, v17, v16
	v_mul_lo_u32 v17, s2, v10
	s_delay_alu instid0(VALU_DEP_2) | instskip(NEXT) | instid1(VALU_DEP_2)
	v_add_nc_u32_e32 v16, v16, v18
	v_mul_hi_u32 v18, v10, v17
	s_delay_alu instid0(VALU_DEP_2)
	v_mul_lo_u32 v19, v10, v16
	v_mul_hi_u32 v20, v10, v16
	v_mul_hi_u32 v21, v11, v17
	v_mul_lo_u32 v17, v11, v17
	v_mul_hi_u32 v22, v11, v16
	v_mul_lo_u32 v16, v11, v16
	v_add_co_u32 v18, vcc_lo, v18, v19
	v_add_co_ci_u32_e32 v19, vcc_lo, 0, v20, vcc_lo
	s_delay_alu instid0(VALU_DEP_2) | instskip(NEXT) | instid1(VALU_DEP_2)
	v_add_co_u32 v17, vcc_lo, v18, v17
	v_add_co_ci_u32_e32 v17, vcc_lo, v19, v21, vcc_lo
	v_add_co_ci_u32_e32 v18, vcc_lo, 0, v22, vcc_lo
	v_ashrrev_i32_e32 v21, 31, v15
	s_delay_alu instid0(VALU_DEP_3) | instskip(NEXT) | instid1(VALU_DEP_3)
	v_add_co_u32 v16, vcc_lo, v17, v16
	v_add_co_ci_u32_e32 v17, vcc_lo, 0, v18, vcc_lo
	s_delay_alu instid0(VALU_DEP_2) | instskip(NEXT) | instid1(VALU_DEP_2)
	v_add_co_u32 v10, vcc_lo, v10, v16
	v_add_co_ci_u32_e32 v11, vcc_lo, v11, v17, vcc_lo
	s_delay_alu instid0(VALU_DEP_2) | instskip(SKIP_1) | instid1(VALU_DEP_3)
	v_mul_hi_u32 v16, s2, v10
	v_mul_lo_u32 v18, s5, v10
	v_mul_lo_u32 v17, s2, v11
	s_delay_alu instid0(VALU_DEP_1) | instskip(SKIP_1) | instid1(VALU_DEP_2)
	v_add_nc_u32_e32 v16, v16, v17
	v_mul_lo_u32 v17, s2, v10
	v_add_nc_u32_e32 v16, v16, v18
	s_delay_alu instid0(VALU_DEP_2) | instskip(NEXT) | instid1(VALU_DEP_2)
	v_mul_hi_u32 v18, v10, v17
	v_mul_lo_u32 v19, v10, v16
	v_mul_hi_u32 v20, v10, v16
	v_mul_hi_u32 v22, v11, v17
	v_mul_lo_u32 v17, v11, v17
	v_mul_hi_u32 v23, v11, v16
	v_mul_lo_u32 v16, v11, v16
	v_add_co_u32 v18, vcc_lo, v18, v19
	v_add_co_ci_u32_e32 v19, vcc_lo, 0, v20, vcc_lo
	s_delay_alu instid0(VALU_DEP_2) | instskip(NEXT) | instid1(VALU_DEP_2)
	v_add_co_u32 v17, vcc_lo, v18, v17
	v_add_co_ci_u32_e32 v17, vcc_lo, v19, v22, vcc_lo
	v_add_co_ci_u32_e32 v18, vcc_lo, 0, v23, vcc_lo
	v_add_co_u32 v19, vcc_lo, v14, v21
	v_add_co_ci_u32_e32 v20, vcc_lo, v15, v21, vcc_lo
	s_delay_alu instid0(VALU_DEP_4) | instskip(NEXT) | instid1(VALU_DEP_4)
	v_add_co_u32 v16, vcc_lo, v17, v16
	v_add_co_ci_u32_e32 v17, vcc_lo, 0, v18, vcc_lo
	s_delay_alu instid0(VALU_DEP_4) | instskip(NEXT) | instid1(VALU_DEP_3)
	v_xor_b32_e32 v22, v19, v21
	v_add_co_u32 v18, vcc_lo, v10, v16
	s_delay_alu instid0(VALU_DEP_3) | instskip(SKIP_1) | instid1(VALU_DEP_3)
	v_add_co_ci_u32_e32 v23, vcc_lo, v11, v17, vcc_lo
	v_xor_b32_e32 v20, v20, v21
	v_mul_hi_u32 v24, v22, v18
	s_delay_alu instid0(VALU_DEP_3) | instskip(NEXT) | instid1(VALU_DEP_3)
	v_mad_u64_u32 v[10:11], null, v22, v23, 0
	v_mad_u64_u32 v[16:17], null, v20, v18, 0
	;; [unrolled: 1-line block ×3, first 2 shown]
	s_delay_alu instid0(VALU_DEP_3) | instskip(NEXT) | instid1(VALU_DEP_4)
	v_add_co_u32 v10, vcc_lo, v24, v10
	v_add_co_ci_u32_e32 v11, vcc_lo, 0, v11, vcc_lo
	s_delay_alu instid0(VALU_DEP_2) | instskip(NEXT) | instid1(VALU_DEP_2)
	v_add_co_u32 v10, vcc_lo, v10, v16
	v_add_co_ci_u32_e32 v10, vcc_lo, v11, v17, vcc_lo
	v_add_co_ci_u32_e32 v11, vcc_lo, 0, v19, vcc_lo
	s_delay_alu instid0(VALU_DEP_2) | instskip(NEXT) | instid1(VALU_DEP_2)
	v_add_co_u32 v16, vcc_lo, v10, v18
	v_add_co_ci_u32_e32 v17, vcc_lo, 0, v11, vcc_lo
	s_delay_alu instid0(VALU_DEP_2) | instskip(SKIP_1) | instid1(VALU_DEP_3)
	v_mul_lo_u32 v18, s7, v16
	v_mad_u64_u32 v[10:11], null, s6, v16, 0
	v_mul_lo_u32 v19, s6, v17
	s_delay_alu instid0(VALU_DEP_2) | instskip(NEXT) | instid1(VALU_DEP_2)
	v_sub_co_u32 v10, vcc_lo, v22, v10
	v_add3_u32 v11, v11, v19, v18
	s_delay_alu instid0(VALU_DEP_1) | instskip(NEXT) | instid1(VALU_DEP_1)
	v_sub_nc_u32_e32 v18, v20, v11
	v_subrev_co_ci_u32_e64 v18, s2, s7, v18, vcc_lo
	v_add_co_u32 v19, s2, v16, 2
	s_delay_alu instid0(VALU_DEP_1) | instskip(SKIP_3) | instid1(VALU_DEP_3)
	v_add_co_ci_u32_e64 v22, s2, 0, v17, s2
	v_sub_co_u32 v23, s2, v10, s6
	v_sub_co_ci_u32_e32 v11, vcc_lo, v20, v11, vcc_lo
	v_subrev_co_ci_u32_e64 v18, s2, 0, v18, s2
	v_cmp_le_u32_e32 vcc_lo, s6, v23
	s_delay_alu instid0(VALU_DEP_3) | instskip(SKIP_1) | instid1(VALU_DEP_4)
	v_cmp_eq_u32_e64 s2, s7, v11
	v_cndmask_b32_e64 v20, 0, -1, vcc_lo
	v_cmp_le_u32_e32 vcc_lo, s7, v18
	v_cndmask_b32_e64 v23, 0, -1, vcc_lo
	v_cmp_le_u32_e32 vcc_lo, s6, v10
	;; [unrolled: 2-line block ×3, first 2 shown]
	v_cndmask_b32_e64 v24, 0, -1, vcc_lo
	v_cmp_eq_u32_e32 vcc_lo, s7, v18
	s_delay_alu instid0(VALU_DEP_2) | instskip(SKIP_3) | instid1(VALU_DEP_3)
	v_cndmask_b32_e64 v10, v24, v10, s2
	v_cndmask_b32_e32 v18, v23, v20, vcc_lo
	v_add_co_u32 v20, vcc_lo, v16, 1
	v_add_co_ci_u32_e32 v23, vcc_lo, 0, v17, vcc_lo
	v_cmp_ne_u32_e32 vcc_lo, 0, v18
	s_delay_alu instid0(VALU_DEP_2) | instskip(SKIP_2) | instid1(VALU_DEP_3)
	v_dual_cndmask_b32 v11, v23, v22 :: v_dual_cndmask_b32 v18, v20, v19
	v_cmp_ne_u32_e32 vcc_lo, 0, v10
	v_xor_b32_e32 v19, s4, v21
	v_dual_cndmask_b32 v10, v17, v11 :: v_dual_cndmask_b32 v11, v16, v18
	s_delay_alu instid0(VALU_DEP_1) | instskip(NEXT) | instid1(VALU_DEP_2)
	v_xor_b32_e32 v16, v10, v19
	v_xor_b32_e32 v11, v11, v19
	s_delay_alu instid0(VALU_DEP_1) | instskip(NEXT) | instid1(VALU_DEP_3)
	v_sub_co_u32 v10, vcc_lo, v11, v19
	v_sub_co_ci_u32_e32 v11, vcc_lo, v16, v19, vcc_lo
.LBB2_23:
	s_and_not1_saveexec_b32 s2, s3
	s_cbranch_execz .LBB2_25
; %bb.24:
	v_cvt_f32_u32_e32 v10, s40
	s_sub_i32 s3, 0, s40
	s_delay_alu instid0(VALU_DEP_1) | instskip(SKIP_2) | instid1(VALU_DEP_1)
	v_rcp_iflag_f32_e32 v10, v10
	s_waitcnt_depctr 0xfff
	v_mul_f32_e32 v10, 0x4f7ffffe, v10
	v_cvt_u32_f32_e32 v10, v10
	s_delay_alu instid0(VALU_DEP_1) | instskip(NEXT) | instid1(VALU_DEP_1)
	v_mul_lo_u32 v11, s3, v10
	v_mul_hi_u32 v11, v10, v11
	s_delay_alu instid0(VALU_DEP_1) | instskip(NEXT) | instid1(VALU_DEP_1)
	v_add_nc_u32_e32 v10, v10, v11
	v_mul_hi_u32 v10, v14, v10
	s_delay_alu instid0(VALU_DEP_1) | instskip(SKIP_1) | instid1(VALU_DEP_2)
	v_mul_lo_u32 v11, v10, s40
	v_add_nc_u32_e32 v16, 1, v10
	v_sub_nc_u32_e32 v11, v14, v11
	s_delay_alu instid0(VALU_DEP_1) | instskip(SKIP_1) | instid1(VALU_DEP_2)
	v_subrev_nc_u32_e32 v17, s40, v11
	v_cmp_le_u32_e32 vcc_lo, s40, v11
	v_dual_cndmask_b32 v11, v11, v17 :: v_dual_cndmask_b32 v10, v10, v16
	s_delay_alu instid0(VALU_DEP_1) | instskip(NEXT) | instid1(VALU_DEP_2)
	v_cmp_le_u32_e32 vcc_lo, s40, v11
	v_dual_mov_b32 v11, 0 :: v_dual_add_nc_u32 v16, 1, v10
	s_delay_alu instid0(VALU_DEP_1)
	v_cndmask_b32_e32 v10, v10, v16, vcc_lo
.LBB2_25:
	s_or_b32 exec_lo, exec_lo, s2
	v_mul_lo_u32 v18, v9, s22
	v_mul_lo_u32 v19, v8, s23
	v_mad_u64_u32 v[16:17], null, v8, s22, 0
	v_mul_lo_u32 v9, v9, s30
	v_mul_lo_u32 v5, v5, s36
	;; [unrolled: 1-line block ×6, first 2 shown]
	v_add3_u32 v17, v17, v19, v18
	v_sub_co_u32 v16, vcc_lo, v12, v16
	s_load_b64 s[0:1], s[0:1], 0x80
	s_delay_alu instid0(VALU_DEP_2) | instskip(NEXT) | instid1(VALU_DEP_2)
	v_sub_co_ci_u32_e32 v17, vcc_lo, v13, v17, vcc_lo
	v_mul_lo_u32 v18, v16, s29
	v_mad_u64_u32 v[12:13], null, v16, s28, s[16:17]
	s_delay_alu instid0(VALU_DEP_3) | instskip(NEXT) | instid1(VALU_DEP_1)
	v_mul_lo_u32 v16, v17, s28
	v_add3_u32 v13, v16, v13, v18
	v_mul_lo_u32 v18, v8, s31
	s_waitcnt lgkmcnt(0)
	v_mul_lo_u32 v3, v3, s0
	s_delay_alu instid0(VALU_DEP_3) | instskip(SKIP_1) | instid1(VALU_DEP_2)
	v_mad_u64_u32 v[16:17], null, v8, s30, v[12:13]
	v_mul_lo_u32 v12, v4, s37
	v_add3_u32 v17, v9, v17, v18
	s_delay_alu instid0(VALU_DEP_1) | instskip(NEXT) | instid1(VALU_DEP_1)
	v_mad_u64_u32 v[8:9], null, v4, s36, v[16:17]
	v_add3_u32 v9, v5, v9, v12
	v_mul_lo_u32 v12, v0, s39
	s_delay_alu instid0(VALU_DEP_2) | instskip(SKIP_1) | instid1(VALU_DEP_2)
	v_mad_u64_u32 v[4:5], null, v0, s38, v[8:9]
	v_mul_lo_u32 v8, v10, s41
	v_add3_u32 v5, v1, v5, v12
	s_clause 0x7
	global_load_b128 v[16:19], v[4:5], off
	global_load_b128 v[20:23], v[4:5], off offset:16
	global_load_b128 v[24:27], v[4:5], off offset:32
	;; [unrolled: 1-line block ×7, first 2 shown]
	v_mad_u64_u32 v[4:5], null, v10, s40, 0
	s_waitcnt vmcnt(7)
	v_cmp_lg_f32_e32 vcc_lo, 0, v16
	v_cndmask_b32_e64 v1, 0, |v16|, vcc_lo
	v_cndmask_b32_e32 v0, 0, v16, vcc_lo
	s_delay_alu instid0(VALU_DEP_2) | instskip(NEXT) | instid1(VALU_DEP_1)
	v_cmp_lt_f32_e64 vcc_lo, v1, |v17|
	v_cndmask_b32_e64 v1, v1, |v17|, vcc_lo
	s_delay_alu instid0(VALU_DEP_3) | instskip(NEXT) | instid1(VALU_DEP_2)
	v_cndmask_b32_e32 v0, v0, v17, vcc_lo
	v_cmp_lt_f32_e64 vcc_lo, v1, |v18|
	s_delay_alu instid0(VALU_DEP_1) | instskip(NEXT) | instid1(VALU_DEP_3)
	v_cndmask_b32_e64 v1, v1, |v18|, vcc_lo
	v_cndmask_b32_e32 v0, v0, v18, vcc_lo
	s_delay_alu instid0(VALU_DEP_2) | instskip(NEXT) | instid1(VALU_DEP_1)
	v_cmp_lt_f32_e64 vcc_lo, v1, |v19|
	v_cndmask_b32_e64 v1, v1, |v19|, vcc_lo
	s_delay_alu instid0(VALU_DEP_3) | instskip(SKIP_1) | instid1(VALU_DEP_2)
	v_cndmask_b32_e32 v0, v0, v19, vcc_lo
	s_waitcnt vmcnt(6)
	v_cmp_lt_f32_e64 vcc_lo, v1, |v20|
	s_delay_alu instid0(VALU_DEP_1) | instskip(NEXT) | instid1(VALU_DEP_3)
	v_cndmask_b32_e64 v1, v1, |v20|, vcc_lo
	v_cndmask_b32_e32 v0, v0, v20, vcc_lo
	s_delay_alu instid0(VALU_DEP_2) | instskip(NEXT) | instid1(VALU_DEP_1)
	v_cmp_lt_f32_e64 vcc_lo, v1, |v21|
	v_cndmask_b32_e64 v1, v1, |v21|, vcc_lo
	s_delay_alu instid0(VALU_DEP_3) | instskip(NEXT) | instid1(VALU_DEP_2)
	v_cndmask_b32_e32 v0, v0, v21, vcc_lo
	v_cmp_lt_f32_e64 vcc_lo, v1, |v22|
	s_delay_alu instid0(VALU_DEP_1) | instskip(NEXT) | instid1(VALU_DEP_3)
	v_cndmask_b32_e64 v1, v1, |v22|, vcc_lo
	v_cndmask_b32_e32 v0, v0, v22, vcc_lo
	s_delay_alu instid0(VALU_DEP_2) | instskip(NEXT) | instid1(VALU_DEP_1)
	v_cmp_lt_f32_e64 vcc_lo, v1, |v23|
	v_cndmask_b32_e64 v1, v1, |v23|, vcc_lo
	s_delay_alu instid0(VALU_DEP_3) | instskip(SKIP_1) | instid1(VALU_DEP_2)
	v_cndmask_b32_e32 v0, v0, v23, vcc_lo
	s_waitcnt vmcnt(5)
	v_cmp_lt_f32_e64 vcc_lo, v1, |v24|
	s_delay_alu instid0(VALU_DEP_1) | instskip(NEXT) | instid1(VALU_DEP_3)
	;; [unrolled: 19-line block ×7, first 2 shown]
	v_cndmask_b32_e64 v1, v1, |v44|, vcc_lo
	v_cndmask_b32_e32 v0, v0, v44, vcc_lo
	s_delay_alu instid0(VALU_DEP_2) | instskip(NEXT) | instid1(VALU_DEP_1)
	v_cmp_lt_f32_e64 vcc_lo, v1, |v45|
	v_cndmask_b32_e64 v1, v1, |v45|, vcc_lo
	s_delay_alu instid0(VALU_DEP_3) | instskip(NEXT) | instid1(VALU_DEP_2)
	v_cndmask_b32_e32 v0, v0, v45, vcc_lo
	v_cmp_lt_f32_e64 vcc_lo, v1, |v46|
	s_delay_alu instid0(VALU_DEP_1) | instskip(NEXT) | instid1(VALU_DEP_3)
	v_cndmask_b32_e64 v1, v1, |v46|, vcc_lo
	v_cndmask_b32_e32 v0, v0, v46, vcc_lo
	s_delay_alu instid0(VALU_DEP_2) | instskip(SKIP_1) | instid1(VALU_DEP_3)
	v_cmp_lt_f32_e64 vcc_lo, v1, |v47|
	v_mul_lo_u32 v1, v11, s40
	v_cndmask_b32_e32 v0, v0, v47, vcc_lo
	v_sub_co_u32 v4, vcc_lo, v14, v4
	s_delay_alu instid0(VALU_DEP_3) | instskip(NEXT) | instid1(VALU_DEP_3)
	v_add3_u32 v1, v5, v8, v1
	v_mul_f32_e32 v12, 0xbe000000, v0
	s_delay_alu instid0(VALU_DEP_2) | instskip(NEXT) | instid1(VALU_DEP_2)
	v_sub_co_ci_u32_e32 v1, vcc_lo, v15, v1, vcc_lo
	v_div_scale_f32 v9, null, v12, v12, 1.0
	v_div_scale_f32 v14, vcc_lo, 1.0, v12, 1.0
	s_delay_alu instid0(VALU_DEP_3) | instskip(NEXT) | instid1(VALU_DEP_3)
	v_ashrrev_i32_e32 v8, 31, v1
	v_rcp_f32_e32 v13, v9
	s_waitcnt_depctr 0xfff
	v_fma_f32 v5, -v9, v13, 1.0
	s_delay_alu instid0(VALU_DEP_1) | instskip(SKIP_1) | instid1(VALU_DEP_2)
	v_fmac_f32_e32 v13, v5, v13
	v_lshrrev_b32_e32 v5, 27, v8
	v_mul_f32_e32 v15, v14, v13
	s_delay_alu instid0(VALU_DEP_2) | instskip(NEXT) | instid1(VALU_DEP_1)
	v_add_co_u32 v4, s2, v4, v5
	v_add_co_ci_u32_e64 v5, s2, 0, v1, s2
	s_delay_alu instid0(VALU_DEP_3) | instskip(NEXT) | instid1(VALU_DEP_2)
	v_fma_f32 v1, -v9, v15, v14
	v_ashrrev_i64 v[4:5], 5, v[4:5]
	s_delay_alu instid0(VALU_DEP_2) | instskip(NEXT) | instid1(VALU_DEP_2)
	v_fmac_f32_e32 v15, v1, v13
	v_mul_lo_u32 v1, v4, s47
	s_delay_alu instid0(VALU_DEP_2) | instskip(SKIP_2) | instid1(VALU_DEP_3)
	v_fma_f32 v14, -v9, v15, v14
	v_mad_u64_u32 v[8:9], null, v4, s46, s[18:19]
	v_mul_lo_u32 v5, v5, s46
	v_div_fmas_f32 v4, v14, v13, v15
	v_cmp_neq_f32_e32 vcc_lo, 0, v12
	s_delay_alu instid0(VALU_DEP_2) | instskip(NEXT) | instid1(VALU_DEP_4)
	v_div_fixup_f32 v4, v4, v12, 1.0
	v_add3_u32 v9, v5, v9, v1
	s_delay_alu instid0(VALU_DEP_2) | instskip(NEXT) | instid1(VALU_DEP_2)
	v_cndmask_b32_e32 v1, 0, v4, vcc_lo
	v_mad_u64_u32 v[4:5], null, v10, s48, v[8:9]
	s_delay_alu instid0(VALU_DEP_2)
	v_fmaak_f32 v8, v16, v1, 0x41080000
	v_fmaak_f32 v9, v32, v1, 0x41080000
	;; [unrolled: 1-line block ×32, first 2 shown]
	v_cvt_i32_f32_e32 v56, v8
	v_cvt_i32_f32_e32 v8, v9
	;; [unrolled: 1-line block ×32, first 2 shown]
	v_cvt_f64_i32_e32 v[8:9], v8
	v_cvt_f64_i32_e32 v[10:11], v10
	;; [unrolled: 1-line block ×32, first 2 shown]
	v_add3_u32 v5, v73, v5, v72
	v_mul_lo_u32 v1, v6, s51
	s_delay_alu instid0(VALU_DEP_2)
	v_mad_u64_u32 v[72:73], null, v6, s50, v[4:5]
	v_min_f64 v[4:5], 0x402e0000, v[8:9]
	v_min_f64 v[6:7], 0x402e0000, v[10:11]
	;; [unrolled: 1-line block ×32, first 2 shown]
	v_add3_u32 v73, v74, v73, v1
	v_mul_lo_u32 v1, v2, s1
	s_delay_alu instid0(VALU_DEP_2)
	v_mad_u64_u32 v[68:69], null, v2, s0, v[72:73]
	v_cvt_i32_f64_e32 v2, v[4:5]
	v_cvt_i32_f64_e32 v4, v[6:7]
	;; [unrolled: 1-line block ×32, first 2 shown]
	v_add3_u32 v69, v3, v69, v1
	s_mov_b32 s0, 0xbe000000
	v_lshlrev_b16 v1, 4, v2
	v_lshlrev_b16 v2, 4, v4
	;; [unrolled: 1-line block ×24, first 2 shown]
	v_or_b32_e32 v1, v1, v27
	v_or_b32_e32 v2, v2, v28
	;; [unrolled: 1-line block ×16, first 2 shown]
	v_and_b32_e32 v7, 0xff, v7
	v_and_b32_e32 v8, 0xff, v8
	;; [unrolled: 1-line block ×8, first 2 shown]
	v_or_b32_e32 v7, v7, v9
	v_or_b32_e32 v8, v8, v10
	;; [unrolled: 1-line block ×8, first 2 shown]
	v_lshlrev_b32_e32 v6, 16, v6
	v_and_b32_e32 v7, 0xffff, v7
	v_lshlrev_b32_e32 v8, 16, v8
	v_and_b32_e32 v5, 0xffff, v5
	v_and_b32_e32 v9, 0xffff, v3
	v_lshlrev_b32_e32 v4, 16, v4
	v_and_b32_e32 v10, 0xffff, v1
	v_lshlrev_b32_e32 v11, 16, v2
	v_fma_mixlo_f16 v12, v0, s0, 0
	v_or_b32_e32 v3, v7, v8
	v_or_b32_e32 v2, v5, v6
	;; [unrolled: 1-line block ×4, first 2 shown]
	s_clause 0x1
	global_store_b16 v[68:69], v12, off
	global_store_b128 v[68:69], v[0:3], off offset:2
.LBB2_26:
	s_nop 0
	s_sendmsg sendmsg(MSG_DEALLOC_VGPRS)
	s_endpgm
	.section	.rodata,"a",@progbits
	.p2align	6, 0x0
	.amdhsa_kernel _ZL9cpy_f32_qIXadL_ZL17cpy_blck_f32_q4_0PKcPcEELi32EEvS1_S2_lllllllllllllll
		.amdhsa_group_segment_fixed_size 0
		.amdhsa_private_segment_fixed_size 0
		.amdhsa_kernarg_size 392
		.amdhsa_user_sgpr_count 15
		.amdhsa_user_sgpr_dispatch_ptr 0
		.amdhsa_user_sgpr_queue_ptr 0
		.amdhsa_user_sgpr_kernarg_segment_ptr 1
		.amdhsa_user_sgpr_dispatch_id 0
		.amdhsa_user_sgpr_private_segment_size 0
		.amdhsa_wavefront_size32 1
		.amdhsa_uses_dynamic_stack 0
		.amdhsa_enable_private_segment 0
		.amdhsa_system_sgpr_workgroup_id_x 1
		.amdhsa_system_sgpr_workgroup_id_y 0
		.amdhsa_system_sgpr_workgroup_id_z 0
		.amdhsa_system_sgpr_workgroup_info 0
		.amdhsa_system_vgpr_workitem_id 0
		.amdhsa_next_free_vgpr 75
		.amdhsa_next_free_sgpr 52
		.amdhsa_reserve_vcc 1
		.amdhsa_float_round_mode_32 0
		.amdhsa_float_round_mode_16_64 0
		.amdhsa_float_denorm_mode_32 3
		.amdhsa_float_denorm_mode_16_64 3
		.amdhsa_dx10_clamp 1
		.amdhsa_ieee_mode 1
		.amdhsa_fp16_overflow 0
		.amdhsa_workgroup_processor_mode 1
		.amdhsa_memory_ordered 1
		.amdhsa_forward_progress 0
		.amdhsa_shared_vgpr_count 0
		.amdhsa_exception_fp_ieee_invalid_op 0
		.amdhsa_exception_fp_denorm_src 0
		.amdhsa_exception_fp_ieee_div_zero 0
		.amdhsa_exception_fp_ieee_overflow 0
		.amdhsa_exception_fp_ieee_underflow 0
		.amdhsa_exception_fp_ieee_inexact 0
		.amdhsa_exception_int_div_zero 0
	.end_amdhsa_kernel
	.section	.text._ZL9cpy_f32_qIXadL_ZL17cpy_blck_f32_q4_0PKcPcEELi32EEvS1_S2_lllllllllllllll,"axG",@progbits,_ZL9cpy_f32_qIXadL_ZL17cpy_blck_f32_q4_0PKcPcEELi32EEvS1_S2_lllllllllllllll,comdat
.Lfunc_end2:
	.size	_ZL9cpy_f32_qIXadL_ZL17cpy_blck_f32_q4_0PKcPcEELi32EEvS1_S2_lllllllllllllll, .Lfunc_end2-_ZL9cpy_f32_qIXadL_ZL17cpy_blck_f32_q4_0PKcPcEELi32EEvS1_S2_lllllllllllllll
                                        ; -- End function
	.section	.AMDGPU.csdata,"",@progbits
; Kernel info:
; codeLenInByte = 9280
; NumSgprs: 54
; NumVgprs: 75
; ScratchSize: 0
; MemoryBound: 0
; FloatMode: 240
; IeeeMode: 1
; LDSByteSize: 0 bytes/workgroup (compile time only)
; SGPRBlocks: 6
; VGPRBlocks: 9
; NumSGPRsForWavesPerEU: 54
; NumVGPRsForWavesPerEU: 75
; Occupancy: 16
; WaveLimiterHint : 0
; COMPUTE_PGM_RSRC2:SCRATCH_EN: 0
; COMPUTE_PGM_RSRC2:USER_SGPR: 15
; COMPUTE_PGM_RSRC2:TRAP_HANDLER: 0
; COMPUTE_PGM_RSRC2:TGID_X_EN: 1
; COMPUTE_PGM_RSRC2:TGID_Y_EN: 0
; COMPUTE_PGM_RSRC2:TGID_Z_EN: 0
; COMPUTE_PGM_RSRC2:TIDIG_COMP_CNT: 0
	.section	.text._ZL9cpy_q_f32IXadL_ZL14cpy_blck_q_f32IXadL_ZL15dequantize_q4_0PKvliR15HIP_vector_typeIfLj2EEEELi32EEvPKcPcEELi32EEvS7_S8_lllllllllllllll,"axG",@progbits,_ZL9cpy_q_f32IXadL_ZL14cpy_blck_q_f32IXadL_ZL15dequantize_q4_0PKvliR15HIP_vector_typeIfLj2EEEELi32EEvPKcPcEELi32EEvS7_S8_lllllllllllllll,comdat
	.globl	_ZL9cpy_q_f32IXadL_ZL14cpy_blck_q_f32IXadL_ZL15dequantize_q4_0PKvliR15HIP_vector_typeIfLj2EEEELi32EEvPKcPcEELi32EEvS7_S8_lllllllllllllll ; -- Begin function _ZL9cpy_q_f32IXadL_ZL14cpy_blck_q_f32IXadL_ZL15dequantize_q4_0PKvliR15HIP_vector_typeIfLj2EEEELi32EEvPKcPcEELi32EEvS7_S8_lllllllllllllll
	.p2align	8
	.type	_ZL9cpy_q_f32IXadL_ZL14cpy_blck_q_f32IXadL_ZL15dequantize_q4_0PKvliR15HIP_vector_typeIfLj2EEEELi32EEvPKcPcEELi32EEvS7_S8_lllllllllllllll,@function
_ZL9cpy_q_f32IXadL_ZL14cpy_blck_q_f32IXadL_ZL15dequantize_q4_0PKvliR15HIP_vector_typeIfLj2EEEELi32EEvPKcPcEELi32EEvS7_S8_lllllllllllllll: ; @_ZL9cpy_q_f32IXadL_ZL14cpy_blck_q_f32IXadL_ZL15dequantize_q4_0PKvliR15HIP_vector_typeIfLj2EEEELi32EEvPKcPcEELi32EEvS7_S8_lllllllllllllll
; %bb.0:
	s_load_b32 s2, s[0:1], 0x94
	v_mov_b32_e32 v2, 0
	s_load_b512 s[16:31], s[0:1], 0x0
	s_delay_alu instid0(VALU_DEP_1)
	v_mov_b32_e32 v1, v2
	s_waitcnt lgkmcnt(0)
	s_and_b32 s2, s2, 0xffff
	s_delay_alu instid0(VALU_DEP_1) | instid1(SALU_CYCLE_1)
	v_mad_u64_u32 v[3:4], null, s2, s15, v[0:1]
	s_mov_b32 s2, exec_lo
	s_delay_alu instid0(VALU_DEP_1) | instskip(NEXT) | instid1(VALU_DEP_1)
	v_lshlrev_b64 v[4:5], 5, v[3:4]
	v_cmpx_gt_i64_e64 s[20:21], v[4:5]
	s_cbranch_execz .LBB3_26
; %bb.1:
	s_mul_i32 s2, s24, s23
	s_mul_hi_u32 s3, s24, s22
                                        ; implicit-def: $vgpr0_vgpr1
	s_delay_alu instid0(SALU_CYCLE_1)
	s_add_i32 s8, s3, s2
	s_mul_i32 s3, s24, s22
	s_mul_i32 s2, s25, s22
	;; [unrolled: 1-line block ×3, first 2 shown]
	s_mul_hi_u32 s5, s3, s26
	s_add_i32 s8, s8, s2
	s_add_i32 s2, s5, s4
	s_mul_i32 s4, s8, s26
	s_mul_i32 s10, s3, s26
	s_add_i32 s9, s2, s4
	s_mov_b32 s2, exec_lo
	v_or_b32_e32 v3, s9, v5
	s_delay_alu instid0(VALU_DEP_1)
	v_cmpx_ne_u64_e32 0, v[2:3]
	s_xor_b32 s11, exec_lo, s2
	s_cbranch_execz .LBB3_3
; %bb.2:
	s_ashr_i32 s4, s9, 31
	s_delay_alu instid0(SALU_CYCLE_1) | instskip(SKIP_2) | instid1(SALU_CYCLE_1)
	s_add_u32 s6, s10, s4
	s_mov_b32 s5, s4
	s_addc_u32 s7, s9, s4
	s_xor_b64 s[6:7], s[6:7], s[4:5]
	s_delay_alu instid0(SALU_CYCLE_1) | instskip(SKIP_3) | instid1(VALU_DEP_1)
	v_cvt_f32_u32_e32 v0, s6
	v_cvt_f32_u32_e32 v1, s7
	s_sub_u32 s2, 0, s6
	s_subb_u32 s5, 0, s7
	v_fmamk_f32 v0, v1, 0x4f800000, v0
	s_delay_alu instid0(VALU_DEP_1) | instskip(SKIP_2) | instid1(VALU_DEP_1)
	v_rcp_f32_e32 v0, v0
	s_waitcnt_depctr 0xfff
	v_mul_f32_e32 v0, 0x5f7ffffc, v0
	v_mul_f32_e32 v1, 0x2f800000, v0
	s_delay_alu instid0(VALU_DEP_1) | instskip(NEXT) | instid1(VALU_DEP_1)
	v_trunc_f32_e32 v1, v1
	v_fmamk_f32 v0, v1, 0xcf800000, v0
	v_cvt_u32_f32_e32 v1, v1
	s_delay_alu instid0(VALU_DEP_2) | instskip(NEXT) | instid1(VALU_DEP_2)
	v_cvt_u32_f32_e32 v0, v0
	v_mul_lo_u32 v2, s2, v1
	s_delay_alu instid0(VALU_DEP_2) | instskip(SKIP_1) | instid1(VALU_DEP_2)
	v_mul_hi_u32 v3, s2, v0
	v_mul_lo_u32 v6, s5, v0
	v_add_nc_u32_e32 v2, v3, v2
	v_mul_lo_u32 v3, s2, v0
	s_delay_alu instid0(VALU_DEP_2) | instskip(NEXT) | instid1(VALU_DEP_2)
	v_add_nc_u32_e32 v2, v2, v6
	v_mul_hi_u32 v6, v0, v3
	s_delay_alu instid0(VALU_DEP_2)
	v_mul_lo_u32 v7, v0, v2
	v_mul_hi_u32 v8, v0, v2
	v_mul_hi_u32 v9, v1, v3
	v_mul_lo_u32 v3, v1, v3
	v_mul_hi_u32 v10, v1, v2
	v_mul_lo_u32 v2, v1, v2
	v_add_co_u32 v6, vcc_lo, v6, v7
	v_add_co_ci_u32_e32 v7, vcc_lo, 0, v8, vcc_lo
	s_delay_alu instid0(VALU_DEP_2) | instskip(NEXT) | instid1(VALU_DEP_2)
	v_add_co_u32 v3, vcc_lo, v6, v3
	v_add_co_ci_u32_e32 v3, vcc_lo, v7, v9, vcc_lo
	v_add_co_ci_u32_e32 v6, vcc_lo, 0, v10, vcc_lo
	s_delay_alu instid0(VALU_DEP_2) | instskip(NEXT) | instid1(VALU_DEP_2)
	v_add_co_u32 v2, vcc_lo, v3, v2
	v_add_co_ci_u32_e32 v3, vcc_lo, 0, v6, vcc_lo
	s_delay_alu instid0(VALU_DEP_2) | instskip(NEXT) | instid1(VALU_DEP_2)
	v_add_co_u32 v0, vcc_lo, v0, v2
	v_add_co_ci_u32_e32 v1, vcc_lo, v1, v3, vcc_lo
	s_delay_alu instid0(VALU_DEP_2) | instskip(SKIP_1) | instid1(VALU_DEP_3)
	v_mul_hi_u32 v2, s2, v0
	v_mul_lo_u32 v6, s5, v0
	v_mul_lo_u32 v3, s2, v1
	s_delay_alu instid0(VALU_DEP_1) | instskip(SKIP_1) | instid1(VALU_DEP_2)
	v_add_nc_u32_e32 v2, v2, v3
	v_mul_lo_u32 v3, s2, v0
	v_add_nc_u32_e32 v2, v2, v6
	s_delay_alu instid0(VALU_DEP_2) | instskip(NEXT) | instid1(VALU_DEP_2)
	v_mul_hi_u32 v6, v0, v3
	v_mul_lo_u32 v7, v0, v2
	v_mul_hi_u32 v8, v0, v2
	v_mul_hi_u32 v9, v1, v3
	v_mul_lo_u32 v3, v1, v3
	v_mul_hi_u32 v10, v1, v2
	v_mul_lo_u32 v2, v1, v2
	v_add_co_u32 v6, vcc_lo, v6, v7
	v_add_co_ci_u32_e32 v7, vcc_lo, 0, v8, vcc_lo
	s_delay_alu instid0(VALU_DEP_2) | instskip(NEXT) | instid1(VALU_DEP_2)
	v_add_co_u32 v3, vcc_lo, v6, v3
	v_add_co_ci_u32_e32 v3, vcc_lo, v7, v9, vcc_lo
	v_add_co_ci_u32_e32 v6, vcc_lo, 0, v10, vcc_lo
	s_delay_alu instid0(VALU_DEP_2) | instskip(NEXT) | instid1(VALU_DEP_2)
	v_add_co_u32 v2, vcc_lo, v3, v2
	v_add_co_ci_u32_e32 v3, vcc_lo, 0, v6, vcc_lo
	s_delay_alu instid0(VALU_DEP_2) | instskip(NEXT) | instid1(VALU_DEP_2)
	v_add_co_u32 v6, vcc_lo, v0, v2
	v_add_co_ci_u32_e32 v8, vcc_lo, v1, v3, vcc_lo
	s_delay_alu instid0(VALU_DEP_2) | instskip(SKIP_1) | instid1(VALU_DEP_3)
	v_mul_hi_u32 v9, v4, v6
	v_mad_u64_u32 v[2:3], null, v5, v6, 0
	v_mad_u64_u32 v[0:1], null, v4, v8, 0
	v_mad_u64_u32 v[6:7], null, v5, v8, 0
	s_delay_alu instid0(VALU_DEP_2) | instskip(NEXT) | instid1(VALU_DEP_3)
	v_add_co_u32 v0, vcc_lo, v9, v0
	v_add_co_ci_u32_e32 v1, vcc_lo, 0, v1, vcc_lo
	s_delay_alu instid0(VALU_DEP_2) | instskip(NEXT) | instid1(VALU_DEP_2)
	v_add_co_u32 v0, vcc_lo, v0, v2
	v_add_co_ci_u32_e32 v0, vcc_lo, v1, v3, vcc_lo
	v_add_co_ci_u32_e32 v1, vcc_lo, 0, v7, vcc_lo
	s_delay_alu instid0(VALU_DEP_2) | instskip(NEXT) | instid1(VALU_DEP_2)
	v_add_co_u32 v2, vcc_lo, v0, v6
	v_add_co_ci_u32_e32 v3, vcc_lo, 0, v1, vcc_lo
	s_delay_alu instid0(VALU_DEP_2) | instskip(SKIP_1) | instid1(VALU_DEP_3)
	v_mul_lo_u32 v6, s7, v2
	v_mad_u64_u32 v[0:1], null, s6, v2, 0
	v_mul_lo_u32 v7, s6, v3
	s_delay_alu instid0(VALU_DEP_2) | instskip(NEXT) | instid1(VALU_DEP_2)
	v_sub_co_u32 v0, vcc_lo, v4, v0
	v_add3_u32 v1, v1, v7, v6
	s_delay_alu instid0(VALU_DEP_1) | instskip(NEXT) | instid1(VALU_DEP_1)
	v_sub_nc_u32_e32 v6, v5, v1
	v_subrev_co_ci_u32_e64 v6, s2, s7, v6, vcc_lo
	v_add_co_u32 v7, s2, v2, 2
	s_delay_alu instid0(VALU_DEP_1) | instskip(SKIP_3) | instid1(VALU_DEP_3)
	v_add_co_ci_u32_e64 v8, s2, 0, v3, s2
	v_sub_co_u32 v9, s2, v0, s6
	v_sub_co_ci_u32_e32 v1, vcc_lo, v5, v1, vcc_lo
	v_subrev_co_ci_u32_e64 v6, s2, 0, v6, s2
	v_cmp_le_u32_e32 vcc_lo, s6, v9
	s_delay_alu instid0(VALU_DEP_3) | instskip(SKIP_1) | instid1(VALU_DEP_4)
	v_cmp_eq_u32_e64 s2, s7, v1
	v_cndmask_b32_e64 v9, 0, -1, vcc_lo
	v_cmp_le_u32_e32 vcc_lo, s7, v6
	v_cndmask_b32_e64 v10, 0, -1, vcc_lo
	v_cmp_le_u32_e32 vcc_lo, s6, v0
	;; [unrolled: 2-line block ×3, first 2 shown]
	v_cndmask_b32_e64 v11, 0, -1, vcc_lo
	v_cmp_eq_u32_e32 vcc_lo, s7, v6
	s_delay_alu instid0(VALU_DEP_2) | instskip(SKIP_3) | instid1(VALU_DEP_3)
	v_cndmask_b32_e64 v0, v11, v0, s2
	v_cndmask_b32_e32 v6, v10, v9, vcc_lo
	v_add_co_u32 v9, vcc_lo, v2, 1
	v_add_co_ci_u32_e32 v10, vcc_lo, 0, v3, vcc_lo
	v_cmp_ne_u32_e32 vcc_lo, 0, v6
	s_delay_alu instid0(VALU_DEP_2) | instskip(SKIP_1) | instid1(VALU_DEP_2)
	v_dual_cndmask_b32 v1, v10, v8 :: v_dual_cndmask_b32 v6, v9, v7
	v_cmp_ne_u32_e32 vcc_lo, 0, v0
	v_dual_cndmask_b32 v0, v3, v1 :: v_dual_cndmask_b32 v1, v2, v6
	s_delay_alu instid0(VALU_DEP_1) | instskip(NEXT) | instid1(VALU_DEP_2)
	v_xor_b32_e32 v2, s4, v0
	v_xor_b32_e32 v1, s4, v1
	s_delay_alu instid0(VALU_DEP_1) | instskip(NEXT) | instid1(VALU_DEP_3)
	v_sub_co_u32 v0, vcc_lo, v1, s4
	v_subrev_co_ci_u32_e32 v1, vcc_lo, s4, v2, vcc_lo
.LBB3_3:
	s_and_not1_saveexec_b32 s2, s11
	s_cbranch_execz .LBB3_5
; %bb.4:
	v_cvt_f32_u32_e32 v0, s10
	s_sub_i32 s4, 0, s10
	s_delay_alu instid0(VALU_DEP_1) | instskip(SKIP_2) | instid1(VALU_DEP_1)
	v_rcp_iflag_f32_e32 v0, v0
	s_waitcnt_depctr 0xfff
	v_mul_f32_e32 v0, 0x4f7ffffe, v0
	v_cvt_u32_f32_e32 v0, v0
	s_delay_alu instid0(VALU_DEP_1) | instskip(NEXT) | instid1(VALU_DEP_1)
	v_mul_lo_u32 v1, s4, v0
	v_mul_hi_u32 v1, v0, v1
	s_delay_alu instid0(VALU_DEP_1) | instskip(NEXT) | instid1(VALU_DEP_1)
	v_add_nc_u32_e32 v0, v0, v1
	v_mul_hi_u32 v0, v4, v0
	s_delay_alu instid0(VALU_DEP_1) | instskip(SKIP_1) | instid1(VALU_DEP_2)
	v_mul_lo_u32 v1, v0, s10
	v_add_nc_u32_e32 v2, 1, v0
	v_sub_nc_u32_e32 v1, v4, v1
	s_delay_alu instid0(VALU_DEP_1) | instskip(SKIP_1) | instid1(VALU_DEP_2)
	v_subrev_nc_u32_e32 v3, s10, v1
	v_cmp_le_u32_e32 vcc_lo, s10, v1
	v_dual_cndmask_b32 v1, v1, v3 :: v_dual_cndmask_b32 v0, v0, v2
	s_delay_alu instid0(VALU_DEP_1) | instskip(NEXT) | instid1(VALU_DEP_2)
	v_cmp_le_u32_e32 vcc_lo, s10, v1
	v_dual_mov_b32 v1, 0 :: v_dual_add_nc_u32 v2, 1, v0
	s_delay_alu instid0(VALU_DEP_1)
	v_cndmask_b32_e32 v0, v0, v2, vcc_lo
.LBB3_5:
	s_or_b32 exec_lo, exec_lo, s2
	s_delay_alu instid0(VALU_DEP_1) | instskip(NEXT) | instid1(VALU_DEP_2)
	v_mul_lo_u32 v6, s9, v0
	v_mul_lo_u32 v7, s10, v1
	v_mad_u64_u32 v[2:3], null, s10, v0, 0
	s_delay_alu instid0(VALU_DEP_1) | instskip(NEXT) | instid1(VALU_DEP_2)
	v_add3_u32 v3, v3, v7, v6
	v_sub_co_u32 v6, vcc_lo, v4, v2
	v_mov_b32_e32 v2, 0
	s_delay_alu instid0(VALU_DEP_3) | instskip(NEXT) | instid1(VALU_DEP_1)
	v_sub_co_ci_u32_e32 v7, vcc_lo, v5, v3, vcc_lo
	v_or_b32_e32 v3, s8, v7
	s_delay_alu instid0(VALU_DEP_1) | instskip(SKIP_1) | instid1(SALU_CYCLE_1)
	v_cmp_ne_u64_e32 vcc_lo, 0, v[2:3]
                                        ; implicit-def: $vgpr2_vgpr3
	s_and_saveexec_b32 s2, vcc_lo
	s_xor_b32 s9, exec_lo, s2
	s_cbranch_execz .LBB3_7
; %bb.6:
	s_ashr_i32 s4, s8, 31
	s_delay_alu instid0(SALU_CYCLE_1) | instskip(SKIP_2) | instid1(SALU_CYCLE_1)
	s_add_u32 s6, s3, s4
	s_mov_b32 s5, s4
	s_addc_u32 s7, s8, s4
	s_xor_b64 s[6:7], s[6:7], s[4:5]
	s_delay_alu instid0(SALU_CYCLE_1) | instskip(SKIP_3) | instid1(VALU_DEP_1)
	v_cvt_f32_u32_e32 v2, s6
	v_cvt_f32_u32_e32 v3, s7
	s_sub_u32 s2, 0, s6
	s_subb_u32 s5, 0, s7
	v_fmamk_f32 v2, v3, 0x4f800000, v2
	s_delay_alu instid0(VALU_DEP_1) | instskip(SKIP_2) | instid1(VALU_DEP_1)
	v_rcp_f32_e32 v2, v2
	s_waitcnt_depctr 0xfff
	v_mul_f32_e32 v2, 0x5f7ffffc, v2
	v_mul_f32_e32 v3, 0x2f800000, v2
	s_delay_alu instid0(VALU_DEP_1) | instskip(NEXT) | instid1(VALU_DEP_1)
	v_trunc_f32_e32 v3, v3
	v_fmamk_f32 v2, v3, 0xcf800000, v2
	v_cvt_u32_f32_e32 v3, v3
	s_delay_alu instid0(VALU_DEP_2) | instskip(NEXT) | instid1(VALU_DEP_2)
	v_cvt_u32_f32_e32 v2, v2
	v_mul_lo_u32 v8, s2, v3
	s_delay_alu instid0(VALU_DEP_2) | instskip(SKIP_1) | instid1(VALU_DEP_2)
	v_mul_hi_u32 v9, s2, v2
	v_mul_lo_u32 v10, s5, v2
	v_add_nc_u32_e32 v8, v9, v8
	v_mul_lo_u32 v9, s2, v2
	s_delay_alu instid0(VALU_DEP_2) | instskip(NEXT) | instid1(VALU_DEP_2)
	v_add_nc_u32_e32 v8, v8, v10
	v_mul_hi_u32 v10, v2, v9
	s_delay_alu instid0(VALU_DEP_2)
	v_mul_lo_u32 v11, v2, v8
	v_mul_hi_u32 v12, v2, v8
	v_mul_hi_u32 v13, v3, v9
	v_mul_lo_u32 v9, v3, v9
	v_mul_hi_u32 v14, v3, v8
	v_mul_lo_u32 v8, v3, v8
	v_add_co_u32 v10, vcc_lo, v10, v11
	v_add_co_ci_u32_e32 v11, vcc_lo, 0, v12, vcc_lo
	s_delay_alu instid0(VALU_DEP_2) | instskip(NEXT) | instid1(VALU_DEP_2)
	v_add_co_u32 v9, vcc_lo, v10, v9
	v_add_co_ci_u32_e32 v9, vcc_lo, v11, v13, vcc_lo
	v_add_co_ci_u32_e32 v10, vcc_lo, 0, v14, vcc_lo
	v_ashrrev_i32_e32 v13, 31, v7
	s_delay_alu instid0(VALU_DEP_3) | instskip(NEXT) | instid1(VALU_DEP_3)
	v_add_co_u32 v8, vcc_lo, v9, v8
	v_add_co_ci_u32_e32 v9, vcc_lo, 0, v10, vcc_lo
	s_delay_alu instid0(VALU_DEP_2) | instskip(NEXT) | instid1(VALU_DEP_2)
	v_add_co_u32 v2, vcc_lo, v2, v8
	v_add_co_ci_u32_e32 v3, vcc_lo, v3, v9, vcc_lo
	s_delay_alu instid0(VALU_DEP_2) | instskip(SKIP_1) | instid1(VALU_DEP_3)
	v_mul_hi_u32 v8, s2, v2
	v_mul_lo_u32 v10, s5, v2
	v_mul_lo_u32 v9, s2, v3
	s_delay_alu instid0(VALU_DEP_1) | instskip(SKIP_1) | instid1(VALU_DEP_2)
	v_add_nc_u32_e32 v8, v8, v9
	v_mul_lo_u32 v9, s2, v2
	v_add_nc_u32_e32 v8, v8, v10
	s_delay_alu instid0(VALU_DEP_2) | instskip(NEXT) | instid1(VALU_DEP_2)
	v_mul_hi_u32 v10, v2, v9
	v_mul_lo_u32 v11, v2, v8
	v_mul_hi_u32 v12, v2, v8
	v_mul_hi_u32 v14, v3, v9
	v_mul_lo_u32 v9, v3, v9
	v_mul_hi_u32 v15, v3, v8
	v_mul_lo_u32 v8, v3, v8
	v_add_co_u32 v10, vcc_lo, v10, v11
	v_add_co_ci_u32_e32 v11, vcc_lo, 0, v12, vcc_lo
	s_delay_alu instid0(VALU_DEP_2) | instskip(NEXT) | instid1(VALU_DEP_2)
	v_add_co_u32 v9, vcc_lo, v10, v9
	v_add_co_ci_u32_e32 v9, vcc_lo, v11, v14, vcc_lo
	v_add_co_ci_u32_e32 v10, vcc_lo, 0, v15, vcc_lo
	v_add_co_u32 v11, vcc_lo, v6, v13
	v_add_co_ci_u32_e32 v12, vcc_lo, v7, v13, vcc_lo
	s_delay_alu instid0(VALU_DEP_4) | instskip(NEXT) | instid1(VALU_DEP_4)
	v_add_co_u32 v8, vcc_lo, v9, v8
	v_add_co_ci_u32_e32 v9, vcc_lo, 0, v10, vcc_lo
	s_delay_alu instid0(VALU_DEP_4) | instskip(NEXT) | instid1(VALU_DEP_3)
	v_xor_b32_e32 v14, v11, v13
	v_add_co_u32 v10, vcc_lo, v2, v8
	s_delay_alu instid0(VALU_DEP_3) | instskip(SKIP_1) | instid1(VALU_DEP_3)
	v_add_co_ci_u32_e32 v15, vcc_lo, v3, v9, vcc_lo
	v_xor_b32_e32 v12, v12, v13
	v_mul_hi_u32 v16, v14, v10
	s_delay_alu instid0(VALU_DEP_3) | instskip(NEXT) | instid1(VALU_DEP_3)
	v_mad_u64_u32 v[2:3], null, v14, v15, 0
	v_mad_u64_u32 v[8:9], null, v12, v10, 0
	v_mad_u64_u32 v[10:11], null, v12, v15, 0
	s_delay_alu instid0(VALU_DEP_3) | instskip(NEXT) | instid1(VALU_DEP_4)
	v_add_co_u32 v2, vcc_lo, v16, v2
	v_add_co_ci_u32_e32 v3, vcc_lo, 0, v3, vcc_lo
	s_delay_alu instid0(VALU_DEP_2) | instskip(NEXT) | instid1(VALU_DEP_2)
	v_add_co_u32 v2, vcc_lo, v2, v8
	v_add_co_ci_u32_e32 v2, vcc_lo, v3, v9, vcc_lo
	v_add_co_ci_u32_e32 v3, vcc_lo, 0, v11, vcc_lo
	s_delay_alu instid0(VALU_DEP_2) | instskip(NEXT) | instid1(VALU_DEP_2)
	v_add_co_u32 v8, vcc_lo, v2, v10
	v_add_co_ci_u32_e32 v9, vcc_lo, 0, v3, vcc_lo
	s_delay_alu instid0(VALU_DEP_2) | instskip(SKIP_1) | instid1(VALU_DEP_3)
	v_mul_lo_u32 v10, s7, v8
	v_mad_u64_u32 v[2:3], null, s6, v8, 0
	v_mul_lo_u32 v11, s6, v9
	s_delay_alu instid0(VALU_DEP_2) | instskip(NEXT) | instid1(VALU_DEP_2)
	v_sub_co_u32 v2, vcc_lo, v14, v2
	v_add3_u32 v3, v3, v11, v10
	s_delay_alu instid0(VALU_DEP_1) | instskip(NEXT) | instid1(VALU_DEP_1)
	v_sub_nc_u32_e32 v10, v12, v3
	v_subrev_co_ci_u32_e64 v10, s2, s7, v10, vcc_lo
	v_add_co_u32 v11, s2, v8, 2
	s_delay_alu instid0(VALU_DEP_1) | instskip(SKIP_3) | instid1(VALU_DEP_3)
	v_add_co_ci_u32_e64 v14, s2, 0, v9, s2
	v_sub_co_u32 v15, s2, v2, s6
	v_sub_co_ci_u32_e32 v3, vcc_lo, v12, v3, vcc_lo
	v_subrev_co_ci_u32_e64 v10, s2, 0, v10, s2
	v_cmp_le_u32_e32 vcc_lo, s6, v15
	s_delay_alu instid0(VALU_DEP_3) | instskip(SKIP_1) | instid1(VALU_DEP_4)
	v_cmp_eq_u32_e64 s2, s7, v3
	v_cndmask_b32_e64 v12, 0, -1, vcc_lo
	v_cmp_le_u32_e32 vcc_lo, s7, v10
	v_cndmask_b32_e64 v15, 0, -1, vcc_lo
	v_cmp_le_u32_e32 vcc_lo, s6, v2
	;; [unrolled: 2-line block ×3, first 2 shown]
	v_cndmask_b32_e64 v16, 0, -1, vcc_lo
	v_cmp_eq_u32_e32 vcc_lo, s7, v10
	s_delay_alu instid0(VALU_DEP_2) | instskip(SKIP_3) | instid1(VALU_DEP_3)
	v_cndmask_b32_e64 v2, v16, v2, s2
	v_cndmask_b32_e32 v10, v15, v12, vcc_lo
	v_add_co_u32 v12, vcc_lo, v8, 1
	v_add_co_ci_u32_e32 v15, vcc_lo, 0, v9, vcc_lo
	v_cmp_ne_u32_e32 vcc_lo, 0, v10
	s_delay_alu instid0(VALU_DEP_2) | instskip(SKIP_2) | instid1(VALU_DEP_3)
	v_dual_cndmask_b32 v3, v15, v14 :: v_dual_cndmask_b32 v10, v12, v11
	v_cmp_ne_u32_e32 vcc_lo, 0, v2
	v_xor_b32_e32 v11, s4, v13
	v_dual_cndmask_b32 v2, v9, v3 :: v_dual_cndmask_b32 v3, v8, v10
	s_delay_alu instid0(VALU_DEP_1) | instskip(NEXT) | instid1(VALU_DEP_2)
	v_xor_b32_e32 v8, v2, v11
	v_xor_b32_e32 v3, v3, v11
	s_delay_alu instid0(VALU_DEP_1) | instskip(NEXT) | instid1(VALU_DEP_3)
	v_sub_co_u32 v2, vcc_lo, v3, v11
	v_sub_co_ci_u32_e32 v3, vcc_lo, v8, v11, vcc_lo
.LBB3_7:
	s_and_not1_saveexec_b32 s2, s9
	s_cbranch_execz .LBB3_9
; %bb.8:
	v_cvt_f32_u32_e32 v2, s3
	s_sub_i32 s4, 0, s3
	s_delay_alu instid0(VALU_DEP_1) | instskip(SKIP_2) | instid1(VALU_DEP_1)
	v_rcp_iflag_f32_e32 v2, v2
	s_waitcnt_depctr 0xfff
	v_mul_f32_e32 v2, 0x4f7ffffe, v2
	v_cvt_u32_f32_e32 v2, v2
	s_delay_alu instid0(VALU_DEP_1) | instskip(NEXT) | instid1(VALU_DEP_1)
	v_mul_lo_u32 v3, s4, v2
	v_mul_hi_u32 v3, v2, v3
	s_delay_alu instid0(VALU_DEP_1) | instskip(NEXT) | instid1(VALU_DEP_1)
	v_add_nc_u32_e32 v2, v2, v3
	v_mul_hi_u32 v2, v6, v2
	s_delay_alu instid0(VALU_DEP_1) | instskip(SKIP_1) | instid1(VALU_DEP_2)
	v_mul_lo_u32 v3, v2, s3
	v_add_nc_u32_e32 v8, 1, v2
	v_sub_nc_u32_e32 v3, v6, v3
	s_delay_alu instid0(VALU_DEP_1) | instskip(SKIP_1) | instid1(VALU_DEP_2)
	v_subrev_nc_u32_e32 v9, s3, v3
	v_cmp_le_u32_e32 vcc_lo, s3, v3
	v_dual_cndmask_b32 v3, v3, v9 :: v_dual_cndmask_b32 v2, v2, v8
	s_delay_alu instid0(VALU_DEP_1) | instskip(NEXT) | instid1(VALU_DEP_2)
	v_cmp_le_u32_e32 vcc_lo, s3, v3
	v_dual_mov_b32 v3, 0 :: v_dual_add_nc_u32 v8, 1, v2
	s_delay_alu instid0(VALU_DEP_1)
	v_cndmask_b32_e32 v2, v2, v8, vcc_lo
.LBB3_9:
	s_or_b32 exec_lo, exec_lo, s2
	s_delay_alu instid0(VALU_DEP_1) | instskip(NEXT) | instid1(VALU_DEP_2)
	v_mul_lo_u32 v10, s8, v2
	v_mul_lo_u32 v11, s3, v3
	v_mad_u64_u32 v[8:9], null, s3, v2, 0
	s_delay_alu instid0(VALU_DEP_1) | instskip(NEXT) | instid1(VALU_DEP_2)
	v_add3_u32 v9, v9, v11, v10
	v_sub_co_u32 v12, vcc_lo, v6, v8
	v_mov_b32_e32 v6, 0
	s_delay_alu instid0(VALU_DEP_3) | instskip(NEXT) | instid1(VALU_DEP_1)
	v_sub_co_ci_u32_e32 v13, vcc_lo, v7, v9, vcc_lo
	v_or_b32_e32 v7, s23, v13
	s_delay_alu instid0(VALU_DEP_1) | instskip(SKIP_1) | instid1(SALU_CYCLE_1)
	v_cmp_ne_u64_e32 vcc_lo, 0, v[6:7]
                                        ; implicit-def: $vgpr6_vgpr7
	s_and_saveexec_b32 s2, vcc_lo
	s_xor_b32 s3, exec_lo, s2
	s_cbranch_execz .LBB3_11
; %bb.10:
	s_ashr_i32 s4, s23, 31
	s_delay_alu instid0(SALU_CYCLE_1) | instskip(SKIP_2) | instid1(SALU_CYCLE_1)
	s_add_u32 s6, s22, s4
	s_mov_b32 s5, s4
	s_addc_u32 s7, s23, s4
	s_xor_b64 s[6:7], s[6:7], s[4:5]
	s_delay_alu instid0(SALU_CYCLE_1) | instskip(SKIP_3) | instid1(VALU_DEP_1)
	v_cvt_f32_u32_e32 v6, s6
	v_cvt_f32_u32_e32 v7, s7
	s_sub_u32 s2, 0, s6
	s_subb_u32 s5, 0, s7
	v_fmamk_f32 v6, v7, 0x4f800000, v6
	s_delay_alu instid0(VALU_DEP_1) | instskip(SKIP_2) | instid1(VALU_DEP_1)
	v_rcp_f32_e32 v6, v6
	s_waitcnt_depctr 0xfff
	v_mul_f32_e32 v6, 0x5f7ffffc, v6
	v_mul_f32_e32 v7, 0x2f800000, v6
	s_delay_alu instid0(VALU_DEP_1) | instskip(NEXT) | instid1(VALU_DEP_1)
	v_trunc_f32_e32 v7, v7
	v_fmamk_f32 v6, v7, 0xcf800000, v6
	v_cvt_u32_f32_e32 v7, v7
	s_delay_alu instid0(VALU_DEP_2) | instskip(NEXT) | instid1(VALU_DEP_2)
	v_cvt_u32_f32_e32 v6, v6
	v_mul_lo_u32 v8, s2, v7
	s_delay_alu instid0(VALU_DEP_2) | instskip(SKIP_1) | instid1(VALU_DEP_2)
	v_mul_hi_u32 v9, s2, v6
	v_mul_lo_u32 v10, s5, v6
	v_add_nc_u32_e32 v8, v9, v8
	v_mul_lo_u32 v9, s2, v6
	s_delay_alu instid0(VALU_DEP_2) | instskip(NEXT) | instid1(VALU_DEP_2)
	v_add_nc_u32_e32 v8, v8, v10
	v_mul_hi_u32 v10, v6, v9
	s_delay_alu instid0(VALU_DEP_2)
	v_mul_lo_u32 v11, v6, v8
	v_mul_hi_u32 v14, v6, v8
	v_mul_hi_u32 v15, v7, v9
	v_mul_lo_u32 v9, v7, v9
	v_mul_hi_u32 v16, v7, v8
	v_mul_lo_u32 v8, v7, v8
	v_add_co_u32 v10, vcc_lo, v10, v11
	v_add_co_ci_u32_e32 v11, vcc_lo, 0, v14, vcc_lo
	s_delay_alu instid0(VALU_DEP_2) | instskip(NEXT) | instid1(VALU_DEP_2)
	v_add_co_u32 v9, vcc_lo, v10, v9
	v_add_co_ci_u32_e32 v9, vcc_lo, v11, v15, vcc_lo
	v_add_co_ci_u32_e32 v10, vcc_lo, 0, v16, vcc_lo
	v_ashrrev_i32_e32 v15, 31, v13
	s_delay_alu instid0(VALU_DEP_3) | instskip(NEXT) | instid1(VALU_DEP_3)
	v_add_co_u32 v8, vcc_lo, v9, v8
	v_add_co_ci_u32_e32 v9, vcc_lo, 0, v10, vcc_lo
	s_delay_alu instid0(VALU_DEP_2) | instskip(NEXT) | instid1(VALU_DEP_2)
	v_add_co_u32 v6, vcc_lo, v6, v8
	v_add_co_ci_u32_e32 v7, vcc_lo, v7, v9, vcc_lo
	s_delay_alu instid0(VALU_DEP_2) | instskip(SKIP_1) | instid1(VALU_DEP_3)
	v_mul_hi_u32 v8, s2, v6
	v_mul_lo_u32 v10, s5, v6
	v_mul_lo_u32 v9, s2, v7
	s_delay_alu instid0(VALU_DEP_1) | instskip(SKIP_1) | instid1(VALU_DEP_2)
	v_add_nc_u32_e32 v8, v8, v9
	v_mul_lo_u32 v9, s2, v6
	v_add_nc_u32_e32 v8, v8, v10
	s_delay_alu instid0(VALU_DEP_2) | instskip(NEXT) | instid1(VALU_DEP_2)
	v_mul_hi_u32 v10, v6, v9
	v_mul_lo_u32 v11, v6, v8
	v_mul_hi_u32 v14, v6, v8
	v_mul_hi_u32 v16, v7, v9
	v_mul_lo_u32 v9, v7, v9
	v_mul_hi_u32 v17, v7, v8
	v_mul_lo_u32 v8, v7, v8
	v_add_co_u32 v10, vcc_lo, v10, v11
	v_add_co_ci_u32_e32 v11, vcc_lo, 0, v14, vcc_lo
	s_delay_alu instid0(VALU_DEP_2) | instskip(NEXT) | instid1(VALU_DEP_2)
	v_add_co_u32 v9, vcc_lo, v10, v9
	v_add_co_ci_u32_e32 v9, vcc_lo, v11, v16, vcc_lo
	v_add_co_ci_u32_e32 v10, vcc_lo, 0, v17, vcc_lo
	v_add_co_u32 v11, vcc_lo, v12, v15
	v_add_co_ci_u32_e32 v14, vcc_lo, v13, v15, vcc_lo
	s_delay_alu instid0(VALU_DEP_4) | instskip(NEXT) | instid1(VALU_DEP_4)
	v_add_co_u32 v8, vcc_lo, v9, v8
	v_add_co_ci_u32_e32 v9, vcc_lo, 0, v10, vcc_lo
	s_delay_alu instid0(VALU_DEP_4) | instskip(NEXT) | instid1(VALU_DEP_3)
	v_xor_b32_e32 v16, v11, v15
	v_add_co_u32 v10, vcc_lo, v6, v8
	s_delay_alu instid0(VALU_DEP_3) | instskip(SKIP_1) | instid1(VALU_DEP_3)
	v_add_co_ci_u32_e32 v17, vcc_lo, v7, v9, vcc_lo
	v_xor_b32_e32 v14, v14, v15
	v_mul_hi_u32 v18, v16, v10
	s_delay_alu instid0(VALU_DEP_3) | instskip(NEXT) | instid1(VALU_DEP_3)
	v_mad_u64_u32 v[6:7], null, v16, v17, 0
	v_mad_u64_u32 v[8:9], null, v14, v10, 0
	;; [unrolled: 1-line block ×3, first 2 shown]
	s_delay_alu instid0(VALU_DEP_3) | instskip(NEXT) | instid1(VALU_DEP_4)
	v_add_co_u32 v6, vcc_lo, v18, v6
	v_add_co_ci_u32_e32 v7, vcc_lo, 0, v7, vcc_lo
	s_delay_alu instid0(VALU_DEP_2) | instskip(NEXT) | instid1(VALU_DEP_2)
	v_add_co_u32 v6, vcc_lo, v6, v8
	v_add_co_ci_u32_e32 v6, vcc_lo, v7, v9, vcc_lo
	v_add_co_ci_u32_e32 v7, vcc_lo, 0, v11, vcc_lo
	s_delay_alu instid0(VALU_DEP_2) | instskip(NEXT) | instid1(VALU_DEP_2)
	v_add_co_u32 v8, vcc_lo, v6, v10
	v_add_co_ci_u32_e32 v9, vcc_lo, 0, v7, vcc_lo
	s_delay_alu instid0(VALU_DEP_2) | instskip(SKIP_1) | instid1(VALU_DEP_3)
	v_mul_lo_u32 v10, s7, v8
	v_mad_u64_u32 v[6:7], null, s6, v8, 0
	v_mul_lo_u32 v11, s6, v9
	s_delay_alu instid0(VALU_DEP_2) | instskip(NEXT) | instid1(VALU_DEP_2)
	v_sub_co_u32 v6, vcc_lo, v16, v6
	v_add3_u32 v7, v7, v11, v10
	s_delay_alu instid0(VALU_DEP_1) | instskip(NEXT) | instid1(VALU_DEP_1)
	v_sub_nc_u32_e32 v10, v14, v7
	v_subrev_co_ci_u32_e64 v10, s2, s7, v10, vcc_lo
	v_add_co_u32 v11, s2, v8, 2
	s_delay_alu instid0(VALU_DEP_1) | instskip(SKIP_3) | instid1(VALU_DEP_3)
	v_add_co_ci_u32_e64 v16, s2, 0, v9, s2
	v_sub_co_u32 v17, s2, v6, s6
	v_sub_co_ci_u32_e32 v7, vcc_lo, v14, v7, vcc_lo
	v_subrev_co_ci_u32_e64 v10, s2, 0, v10, s2
	v_cmp_le_u32_e32 vcc_lo, s6, v17
	s_delay_alu instid0(VALU_DEP_3) | instskip(SKIP_1) | instid1(VALU_DEP_4)
	v_cmp_eq_u32_e64 s2, s7, v7
	v_cndmask_b32_e64 v14, 0, -1, vcc_lo
	v_cmp_le_u32_e32 vcc_lo, s7, v10
	v_cndmask_b32_e64 v17, 0, -1, vcc_lo
	v_cmp_le_u32_e32 vcc_lo, s6, v6
	;; [unrolled: 2-line block ×3, first 2 shown]
	v_cndmask_b32_e64 v18, 0, -1, vcc_lo
	v_cmp_eq_u32_e32 vcc_lo, s7, v10
	s_delay_alu instid0(VALU_DEP_2) | instskip(SKIP_3) | instid1(VALU_DEP_3)
	v_cndmask_b32_e64 v6, v18, v6, s2
	v_cndmask_b32_e32 v10, v17, v14, vcc_lo
	v_add_co_u32 v14, vcc_lo, v8, 1
	v_add_co_ci_u32_e32 v17, vcc_lo, 0, v9, vcc_lo
	v_cmp_ne_u32_e32 vcc_lo, 0, v10
	s_delay_alu instid0(VALU_DEP_2) | instskip(SKIP_2) | instid1(VALU_DEP_3)
	v_dual_cndmask_b32 v7, v17, v16 :: v_dual_cndmask_b32 v10, v14, v11
	v_cmp_ne_u32_e32 vcc_lo, 0, v6
	v_xor_b32_e32 v11, s4, v15
	v_dual_cndmask_b32 v6, v9, v7 :: v_dual_cndmask_b32 v7, v8, v10
	s_delay_alu instid0(VALU_DEP_1) | instskip(NEXT) | instid1(VALU_DEP_2)
	v_xor_b32_e32 v8, v6, v11
	v_xor_b32_e32 v7, v7, v11
	s_delay_alu instid0(VALU_DEP_1) | instskip(NEXT) | instid1(VALU_DEP_3)
	v_sub_co_u32 v6, vcc_lo, v7, v11
	v_sub_co_ci_u32_e32 v7, vcc_lo, v8, v11, vcc_lo
.LBB3_11:
	s_and_not1_saveexec_b32 s2, s3
	s_cbranch_execz .LBB3_13
; %bb.12:
	v_cvt_f32_u32_e32 v6, s22
	s_sub_i32 s3, 0, s22
	s_delay_alu instid0(VALU_DEP_1) | instskip(SKIP_2) | instid1(VALU_DEP_1)
	v_rcp_iflag_f32_e32 v6, v6
	s_waitcnt_depctr 0xfff
	v_mul_f32_e32 v6, 0x4f7ffffe, v6
	v_cvt_u32_f32_e32 v6, v6
	s_delay_alu instid0(VALU_DEP_1) | instskip(NEXT) | instid1(VALU_DEP_1)
	v_mul_lo_u32 v7, s3, v6
	v_mul_hi_u32 v7, v6, v7
	s_delay_alu instid0(VALU_DEP_1) | instskip(NEXT) | instid1(VALU_DEP_1)
	v_add_nc_u32_e32 v6, v6, v7
	v_mul_hi_u32 v6, v12, v6
	s_delay_alu instid0(VALU_DEP_1) | instskip(SKIP_1) | instid1(VALU_DEP_2)
	v_mul_lo_u32 v7, v6, s22
	v_add_nc_u32_e32 v8, 1, v6
	v_sub_nc_u32_e32 v7, v12, v7
	s_delay_alu instid0(VALU_DEP_1) | instskip(SKIP_1) | instid1(VALU_DEP_2)
	v_subrev_nc_u32_e32 v9, s22, v7
	v_cmp_le_u32_e32 vcc_lo, s22, v7
	v_dual_cndmask_b32 v7, v7, v9 :: v_dual_cndmask_b32 v6, v6, v8
	s_delay_alu instid0(VALU_DEP_1) | instskip(NEXT) | instid1(VALU_DEP_2)
	v_cmp_le_u32_e32 vcc_lo, s22, v7
	v_dual_mov_b32 v7, 0 :: v_dual_add_nc_u32 v8, 1, v6
	s_delay_alu instid0(VALU_DEP_1)
	v_cndmask_b32_e32 v6, v6, v8, vcc_lo
.LBB3_13:
	s_or_b32 exec_lo, exec_lo, s2
	s_load_b512 s[36:51], s[0:1], 0x40
	v_mov_b32_e32 v8, 0
	s_waitcnt lgkmcnt(0)
	s_mul_i32 s2, s42, s41
	s_mul_hi_u32 s4, s42, s40
	s_mul_i32 s5, s43, s40
	s_mul_i32 s3, s42, s40
	s_add_i32 s8, s4, s2
	s_mul_i32 s2, s3, s45
	s_mul_hi_u32 s4, s3, s44
	s_add_i32 s8, s8, s5
	s_add_i32 s2, s4, s2
	s_mul_i32 s4, s8, s44
	s_mul_i32 s10, s3, s44
	s_add_i32 s9, s2, s4
	s_delay_alu instid0(SALU_CYCLE_1) | instskip(NEXT) | instid1(VALU_DEP_1)
	v_or_b32_e32 v9, s9, v5
	v_cmp_ne_u64_e32 vcc_lo, 0, v[8:9]
                                        ; implicit-def: $vgpr8_vgpr9
	s_and_saveexec_b32 s2, vcc_lo
	s_delay_alu instid0(SALU_CYCLE_1)
	s_xor_b32 s11, exec_lo, s2
	s_cbranch_execz .LBB3_15
; %bb.14:
	s_ashr_i32 s4, s9, 31
	s_delay_alu instid0(SALU_CYCLE_1) | instskip(SKIP_2) | instid1(SALU_CYCLE_1)
	s_add_u32 s6, s10, s4
	s_mov_b32 s5, s4
	s_addc_u32 s7, s9, s4
	s_xor_b64 s[6:7], s[6:7], s[4:5]
	s_delay_alu instid0(SALU_CYCLE_1) | instskip(SKIP_3) | instid1(VALU_DEP_1)
	v_cvt_f32_u32_e32 v8, s6
	v_cvt_f32_u32_e32 v9, s7
	s_sub_u32 s2, 0, s6
	s_subb_u32 s5, 0, s7
	v_fmamk_f32 v8, v9, 0x4f800000, v8
	s_delay_alu instid0(VALU_DEP_1) | instskip(SKIP_2) | instid1(VALU_DEP_1)
	v_rcp_f32_e32 v8, v8
	s_waitcnt_depctr 0xfff
	v_mul_f32_e32 v8, 0x5f7ffffc, v8
	v_mul_f32_e32 v9, 0x2f800000, v8
	s_delay_alu instid0(VALU_DEP_1) | instskip(NEXT) | instid1(VALU_DEP_1)
	v_trunc_f32_e32 v9, v9
	v_fmamk_f32 v8, v9, 0xcf800000, v8
	v_cvt_u32_f32_e32 v9, v9
	s_delay_alu instid0(VALU_DEP_2) | instskip(NEXT) | instid1(VALU_DEP_2)
	v_cvt_u32_f32_e32 v8, v8
	v_mul_lo_u32 v10, s2, v9
	s_delay_alu instid0(VALU_DEP_2) | instskip(SKIP_1) | instid1(VALU_DEP_2)
	v_mul_hi_u32 v11, s2, v8
	v_mul_lo_u32 v14, s5, v8
	v_add_nc_u32_e32 v10, v11, v10
	v_mul_lo_u32 v11, s2, v8
	s_delay_alu instid0(VALU_DEP_2) | instskip(NEXT) | instid1(VALU_DEP_2)
	v_add_nc_u32_e32 v10, v10, v14
	v_mul_hi_u32 v14, v8, v11
	s_delay_alu instid0(VALU_DEP_2)
	v_mul_lo_u32 v15, v8, v10
	v_mul_hi_u32 v16, v8, v10
	v_mul_hi_u32 v17, v9, v11
	v_mul_lo_u32 v11, v9, v11
	v_mul_hi_u32 v18, v9, v10
	v_mul_lo_u32 v10, v9, v10
	v_add_co_u32 v14, vcc_lo, v14, v15
	v_add_co_ci_u32_e32 v15, vcc_lo, 0, v16, vcc_lo
	s_delay_alu instid0(VALU_DEP_2) | instskip(NEXT) | instid1(VALU_DEP_2)
	v_add_co_u32 v11, vcc_lo, v14, v11
	v_add_co_ci_u32_e32 v11, vcc_lo, v15, v17, vcc_lo
	v_add_co_ci_u32_e32 v14, vcc_lo, 0, v18, vcc_lo
	s_delay_alu instid0(VALU_DEP_2) | instskip(NEXT) | instid1(VALU_DEP_2)
	v_add_co_u32 v10, vcc_lo, v11, v10
	v_add_co_ci_u32_e32 v11, vcc_lo, 0, v14, vcc_lo
	s_delay_alu instid0(VALU_DEP_2) | instskip(NEXT) | instid1(VALU_DEP_2)
	v_add_co_u32 v8, vcc_lo, v8, v10
	v_add_co_ci_u32_e32 v9, vcc_lo, v9, v11, vcc_lo
	s_delay_alu instid0(VALU_DEP_2) | instskip(SKIP_1) | instid1(VALU_DEP_3)
	v_mul_hi_u32 v10, s2, v8
	v_mul_lo_u32 v14, s5, v8
	v_mul_lo_u32 v11, s2, v9
	s_delay_alu instid0(VALU_DEP_1) | instskip(SKIP_1) | instid1(VALU_DEP_2)
	v_add_nc_u32_e32 v10, v10, v11
	v_mul_lo_u32 v11, s2, v8
	v_add_nc_u32_e32 v10, v10, v14
	s_delay_alu instid0(VALU_DEP_2) | instskip(NEXT) | instid1(VALU_DEP_2)
	v_mul_hi_u32 v14, v8, v11
	v_mul_lo_u32 v15, v8, v10
	v_mul_hi_u32 v16, v8, v10
	v_mul_hi_u32 v17, v9, v11
	v_mul_lo_u32 v11, v9, v11
	v_mul_hi_u32 v18, v9, v10
	v_mul_lo_u32 v10, v9, v10
	v_add_co_u32 v14, vcc_lo, v14, v15
	v_add_co_ci_u32_e32 v15, vcc_lo, 0, v16, vcc_lo
	s_delay_alu instid0(VALU_DEP_2) | instskip(NEXT) | instid1(VALU_DEP_2)
	v_add_co_u32 v11, vcc_lo, v14, v11
	v_add_co_ci_u32_e32 v11, vcc_lo, v15, v17, vcc_lo
	v_add_co_ci_u32_e32 v14, vcc_lo, 0, v18, vcc_lo
	s_delay_alu instid0(VALU_DEP_2) | instskip(NEXT) | instid1(VALU_DEP_2)
	v_add_co_u32 v10, vcc_lo, v11, v10
	v_add_co_ci_u32_e32 v11, vcc_lo, 0, v14, vcc_lo
	s_delay_alu instid0(VALU_DEP_2) | instskip(NEXT) | instid1(VALU_DEP_2)
	v_add_co_u32 v14, vcc_lo, v8, v10
	v_add_co_ci_u32_e32 v16, vcc_lo, v9, v11, vcc_lo
	s_delay_alu instid0(VALU_DEP_2) | instskip(SKIP_1) | instid1(VALU_DEP_3)
	v_mul_hi_u32 v17, v4, v14
	v_mad_u64_u32 v[10:11], null, v5, v14, 0
	v_mad_u64_u32 v[8:9], null, v4, v16, 0
	;; [unrolled: 1-line block ×3, first 2 shown]
	s_delay_alu instid0(VALU_DEP_2) | instskip(NEXT) | instid1(VALU_DEP_3)
	v_add_co_u32 v8, vcc_lo, v17, v8
	v_add_co_ci_u32_e32 v9, vcc_lo, 0, v9, vcc_lo
	s_delay_alu instid0(VALU_DEP_2) | instskip(NEXT) | instid1(VALU_DEP_2)
	v_add_co_u32 v8, vcc_lo, v8, v10
	v_add_co_ci_u32_e32 v8, vcc_lo, v9, v11, vcc_lo
	v_add_co_ci_u32_e32 v9, vcc_lo, 0, v15, vcc_lo
	s_delay_alu instid0(VALU_DEP_2) | instskip(NEXT) | instid1(VALU_DEP_2)
	v_add_co_u32 v10, vcc_lo, v8, v14
	v_add_co_ci_u32_e32 v11, vcc_lo, 0, v9, vcc_lo
	s_delay_alu instid0(VALU_DEP_2) | instskip(SKIP_1) | instid1(VALU_DEP_3)
	v_mul_lo_u32 v14, s7, v10
	v_mad_u64_u32 v[8:9], null, s6, v10, 0
	v_mul_lo_u32 v15, s6, v11
	s_delay_alu instid0(VALU_DEP_2) | instskip(NEXT) | instid1(VALU_DEP_2)
	v_sub_co_u32 v8, vcc_lo, v4, v8
	v_add3_u32 v9, v9, v15, v14
	s_delay_alu instid0(VALU_DEP_1) | instskip(NEXT) | instid1(VALU_DEP_1)
	v_sub_nc_u32_e32 v14, v5, v9
	v_subrev_co_ci_u32_e64 v14, s2, s7, v14, vcc_lo
	v_add_co_u32 v15, s2, v10, 2
	s_delay_alu instid0(VALU_DEP_1) | instskip(SKIP_3) | instid1(VALU_DEP_3)
	v_add_co_ci_u32_e64 v16, s2, 0, v11, s2
	v_sub_co_u32 v17, s2, v8, s6
	v_sub_co_ci_u32_e32 v9, vcc_lo, v5, v9, vcc_lo
	v_subrev_co_ci_u32_e64 v14, s2, 0, v14, s2
	v_cmp_le_u32_e32 vcc_lo, s6, v17
	s_delay_alu instid0(VALU_DEP_3) | instskip(SKIP_1) | instid1(VALU_DEP_4)
	v_cmp_eq_u32_e64 s2, s7, v9
	v_cndmask_b32_e64 v17, 0, -1, vcc_lo
	v_cmp_le_u32_e32 vcc_lo, s7, v14
	v_cndmask_b32_e64 v18, 0, -1, vcc_lo
	v_cmp_le_u32_e32 vcc_lo, s6, v8
	;; [unrolled: 2-line block ×3, first 2 shown]
	v_cndmask_b32_e64 v19, 0, -1, vcc_lo
	v_cmp_eq_u32_e32 vcc_lo, s7, v14
	s_delay_alu instid0(VALU_DEP_2) | instskip(SKIP_3) | instid1(VALU_DEP_3)
	v_cndmask_b32_e64 v8, v19, v8, s2
	v_cndmask_b32_e32 v14, v18, v17, vcc_lo
	v_add_co_u32 v17, vcc_lo, v10, 1
	v_add_co_ci_u32_e32 v18, vcc_lo, 0, v11, vcc_lo
	v_cmp_ne_u32_e32 vcc_lo, 0, v14
	s_delay_alu instid0(VALU_DEP_2) | instskip(SKIP_1) | instid1(VALU_DEP_2)
	v_dual_cndmask_b32 v9, v18, v16 :: v_dual_cndmask_b32 v14, v17, v15
	v_cmp_ne_u32_e32 vcc_lo, 0, v8
	v_dual_cndmask_b32 v8, v11, v9 :: v_dual_cndmask_b32 v9, v10, v14
	s_delay_alu instid0(VALU_DEP_1) | instskip(NEXT) | instid1(VALU_DEP_2)
	v_xor_b32_e32 v10, s4, v8
	v_xor_b32_e32 v9, s4, v9
	s_delay_alu instid0(VALU_DEP_1) | instskip(NEXT) | instid1(VALU_DEP_3)
	v_sub_co_u32 v8, vcc_lo, v9, s4
	v_subrev_co_ci_u32_e32 v9, vcc_lo, s4, v10, vcc_lo
.LBB3_15:
	s_and_not1_saveexec_b32 s2, s11
	s_cbranch_execz .LBB3_17
; %bb.16:
	v_cvt_f32_u32_e32 v8, s10
	s_sub_i32 s4, 0, s10
	s_delay_alu instid0(VALU_DEP_1) | instskip(SKIP_2) | instid1(VALU_DEP_1)
	v_rcp_iflag_f32_e32 v8, v8
	s_waitcnt_depctr 0xfff
	v_mul_f32_e32 v8, 0x4f7ffffe, v8
	v_cvt_u32_f32_e32 v8, v8
	s_delay_alu instid0(VALU_DEP_1) | instskip(NEXT) | instid1(VALU_DEP_1)
	v_mul_lo_u32 v9, s4, v8
	v_mul_hi_u32 v9, v8, v9
	s_delay_alu instid0(VALU_DEP_1) | instskip(NEXT) | instid1(VALU_DEP_1)
	v_add_nc_u32_e32 v8, v8, v9
	v_mul_hi_u32 v8, v4, v8
	s_delay_alu instid0(VALU_DEP_1) | instskip(SKIP_1) | instid1(VALU_DEP_2)
	v_mul_lo_u32 v9, v8, s10
	v_add_nc_u32_e32 v10, 1, v8
	v_sub_nc_u32_e32 v9, v4, v9
	s_delay_alu instid0(VALU_DEP_1) | instskip(SKIP_1) | instid1(VALU_DEP_2)
	v_subrev_nc_u32_e32 v11, s10, v9
	v_cmp_le_u32_e32 vcc_lo, s10, v9
	v_dual_cndmask_b32 v9, v9, v11 :: v_dual_cndmask_b32 v8, v8, v10
	s_delay_alu instid0(VALU_DEP_1) | instskip(NEXT) | instid1(VALU_DEP_2)
	v_cmp_le_u32_e32 vcc_lo, s10, v9
	v_dual_mov_b32 v9, 0 :: v_dual_add_nc_u32 v10, 1, v8
	s_delay_alu instid0(VALU_DEP_1)
	v_cndmask_b32_e32 v8, v8, v10, vcc_lo
.LBB3_17:
	s_or_b32 exec_lo, exec_lo, s2
	s_delay_alu instid0(VALU_DEP_1) | instskip(NEXT) | instid1(VALU_DEP_2)
	v_mul_lo_u32 v14, s9, v8
	v_mul_lo_u32 v15, s10, v9
	v_mad_u64_u32 v[10:11], null, s10, v8, 0
	s_delay_alu instid0(VALU_DEP_1) | instskip(NEXT) | instid1(VALU_DEP_2)
	v_add3_u32 v11, v11, v15, v14
	v_sub_co_u32 v10, vcc_lo, v4, v10
	v_mov_b32_e32 v4, 0
	s_delay_alu instid0(VALU_DEP_3) | instskip(NEXT) | instid1(VALU_DEP_1)
	v_sub_co_ci_u32_e32 v11, vcc_lo, v5, v11, vcc_lo
	v_or_b32_e32 v5, s8, v11
	s_delay_alu instid0(VALU_DEP_1) | instskip(SKIP_1) | instid1(SALU_CYCLE_1)
	v_cmp_ne_u64_e32 vcc_lo, 0, v[4:5]
                                        ; implicit-def: $vgpr4_vgpr5
	s_and_saveexec_b32 s2, vcc_lo
	s_xor_b32 s9, exec_lo, s2
	s_cbranch_execz .LBB3_19
; %bb.18:
	s_ashr_i32 s4, s8, 31
	s_delay_alu instid0(SALU_CYCLE_1) | instskip(SKIP_2) | instid1(SALU_CYCLE_1)
	s_add_u32 s6, s3, s4
	s_mov_b32 s5, s4
	s_addc_u32 s7, s8, s4
	s_xor_b64 s[6:7], s[6:7], s[4:5]
	s_delay_alu instid0(SALU_CYCLE_1) | instskip(SKIP_3) | instid1(VALU_DEP_1)
	v_cvt_f32_u32_e32 v4, s6
	v_cvt_f32_u32_e32 v5, s7
	s_sub_u32 s2, 0, s6
	s_subb_u32 s5, 0, s7
	v_fmamk_f32 v4, v5, 0x4f800000, v4
	s_delay_alu instid0(VALU_DEP_1) | instskip(SKIP_2) | instid1(VALU_DEP_1)
	v_rcp_f32_e32 v4, v4
	s_waitcnt_depctr 0xfff
	v_mul_f32_e32 v4, 0x5f7ffffc, v4
	v_mul_f32_e32 v5, 0x2f800000, v4
	s_delay_alu instid0(VALU_DEP_1) | instskip(NEXT) | instid1(VALU_DEP_1)
	v_trunc_f32_e32 v5, v5
	v_fmamk_f32 v4, v5, 0xcf800000, v4
	v_cvt_u32_f32_e32 v5, v5
	s_delay_alu instid0(VALU_DEP_2) | instskip(NEXT) | instid1(VALU_DEP_2)
	v_cvt_u32_f32_e32 v4, v4
	v_mul_lo_u32 v14, s2, v5
	s_delay_alu instid0(VALU_DEP_2) | instskip(SKIP_1) | instid1(VALU_DEP_2)
	v_mul_hi_u32 v15, s2, v4
	v_mul_lo_u32 v16, s5, v4
	v_add_nc_u32_e32 v14, v15, v14
	v_mul_lo_u32 v15, s2, v4
	s_delay_alu instid0(VALU_DEP_2) | instskip(NEXT) | instid1(VALU_DEP_2)
	v_add_nc_u32_e32 v14, v14, v16
	v_mul_hi_u32 v16, v4, v15
	s_delay_alu instid0(VALU_DEP_2)
	v_mul_lo_u32 v17, v4, v14
	v_mul_hi_u32 v18, v4, v14
	v_mul_hi_u32 v19, v5, v15
	v_mul_lo_u32 v15, v5, v15
	v_mul_hi_u32 v20, v5, v14
	v_mul_lo_u32 v14, v5, v14
	v_add_co_u32 v16, vcc_lo, v16, v17
	v_add_co_ci_u32_e32 v17, vcc_lo, 0, v18, vcc_lo
	s_delay_alu instid0(VALU_DEP_2) | instskip(NEXT) | instid1(VALU_DEP_2)
	v_add_co_u32 v15, vcc_lo, v16, v15
	v_add_co_ci_u32_e32 v15, vcc_lo, v17, v19, vcc_lo
	v_add_co_ci_u32_e32 v16, vcc_lo, 0, v20, vcc_lo
	v_ashrrev_i32_e32 v19, 31, v11
	s_delay_alu instid0(VALU_DEP_3) | instskip(NEXT) | instid1(VALU_DEP_3)
	v_add_co_u32 v14, vcc_lo, v15, v14
	v_add_co_ci_u32_e32 v15, vcc_lo, 0, v16, vcc_lo
	s_delay_alu instid0(VALU_DEP_2) | instskip(NEXT) | instid1(VALU_DEP_2)
	v_add_co_u32 v4, vcc_lo, v4, v14
	v_add_co_ci_u32_e32 v5, vcc_lo, v5, v15, vcc_lo
	s_delay_alu instid0(VALU_DEP_2) | instskip(SKIP_1) | instid1(VALU_DEP_3)
	v_mul_hi_u32 v14, s2, v4
	v_mul_lo_u32 v16, s5, v4
	v_mul_lo_u32 v15, s2, v5
	s_delay_alu instid0(VALU_DEP_1) | instskip(SKIP_1) | instid1(VALU_DEP_2)
	v_add_nc_u32_e32 v14, v14, v15
	v_mul_lo_u32 v15, s2, v4
	v_add_nc_u32_e32 v14, v14, v16
	s_delay_alu instid0(VALU_DEP_2) | instskip(NEXT) | instid1(VALU_DEP_2)
	v_mul_hi_u32 v16, v4, v15
	v_mul_lo_u32 v17, v4, v14
	v_mul_hi_u32 v18, v4, v14
	v_mul_hi_u32 v20, v5, v15
	v_mul_lo_u32 v15, v5, v15
	v_mul_hi_u32 v21, v5, v14
	v_mul_lo_u32 v14, v5, v14
	v_add_co_u32 v16, vcc_lo, v16, v17
	v_add_co_ci_u32_e32 v17, vcc_lo, 0, v18, vcc_lo
	s_delay_alu instid0(VALU_DEP_2) | instskip(NEXT) | instid1(VALU_DEP_2)
	v_add_co_u32 v15, vcc_lo, v16, v15
	v_add_co_ci_u32_e32 v15, vcc_lo, v17, v20, vcc_lo
	v_add_co_ci_u32_e32 v16, vcc_lo, 0, v21, vcc_lo
	v_add_co_u32 v17, vcc_lo, v10, v19
	v_add_co_ci_u32_e32 v18, vcc_lo, v11, v19, vcc_lo
	s_delay_alu instid0(VALU_DEP_4) | instskip(NEXT) | instid1(VALU_DEP_4)
	v_add_co_u32 v14, vcc_lo, v15, v14
	v_add_co_ci_u32_e32 v15, vcc_lo, 0, v16, vcc_lo
	s_delay_alu instid0(VALU_DEP_4) | instskip(NEXT) | instid1(VALU_DEP_3)
	v_xor_b32_e32 v20, v17, v19
	v_add_co_u32 v16, vcc_lo, v4, v14
	s_delay_alu instid0(VALU_DEP_3) | instskip(SKIP_1) | instid1(VALU_DEP_3)
	v_add_co_ci_u32_e32 v21, vcc_lo, v5, v15, vcc_lo
	v_xor_b32_e32 v18, v18, v19
	v_mul_hi_u32 v22, v20, v16
	s_delay_alu instid0(VALU_DEP_3) | instskip(NEXT) | instid1(VALU_DEP_3)
	v_mad_u64_u32 v[4:5], null, v20, v21, 0
	v_mad_u64_u32 v[14:15], null, v18, v16, 0
	;; [unrolled: 1-line block ×3, first 2 shown]
	s_delay_alu instid0(VALU_DEP_3) | instskip(NEXT) | instid1(VALU_DEP_4)
	v_add_co_u32 v4, vcc_lo, v22, v4
	v_add_co_ci_u32_e32 v5, vcc_lo, 0, v5, vcc_lo
	s_delay_alu instid0(VALU_DEP_2) | instskip(NEXT) | instid1(VALU_DEP_2)
	v_add_co_u32 v4, vcc_lo, v4, v14
	v_add_co_ci_u32_e32 v4, vcc_lo, v5, v15, vcc_lo
	v_add_co_ci_u32_e32 v5, vcc_lo, 0, v17, vcc_lo
	s_delay_alu instid0(VALU_DEP_2) | instskip(NEXT) | instid1(VALU_DEP_2)
	v_add_co_u32 v14, vcc_lo, v4, v16
	v_add_co_ci_u32_e32 v15, vcc_lo, 0, v5, vcc_lo
	s_delay_alu instid0(VALU_DEP_2) | instskip(SKIP_1) | instid1(VALU_DEP_3)
	v_mul_lo_u32 v16, s7, v14
	v_mad_u64_u32 v[4:5], null, s6, v14, 0
	v_mul_lo_u32 v17, s6, v15
	s_delay_alu instid0(VALU_DEP_2) | instskip(NEXT) | instid1(VALU_DEP_2)
	v_sub_co_u32 v4, vcc_lo, v20, v4
	v_add3_u32 v5, v5, v17, v16
	s_delay_alu instid0(VALU_DEP_1) | instskip(NEXT) | instid1(VALU_DEP_1)
	v_sub_nc_u32_e32 v16, v18, v5
	v_subrev_co_ci_u32_e64 v16, s2, s7, v16, vcc_lo
	v_add_co_u32 v17, s2, v14, 2
	s_delay_alu instid0(VALU_DEP_1) | instskip(SKIP_3) | instid1(VALU_DEP_3)
	v_add_co_ci_u32_e64 v20, s2, 0, v15, s2
	v_sub_co_u32 v21, s2, v4, s6
	v_sub_co_ci_u32_e32 v5, vcc_lo, v18, v5, vcc_lo
	v_subrev_co_ci_u32_e64 v16, s2, 0, v16, s2
	v_cmp_le_u32_e32 vcc_lo, s6, v21
	s_delay_alu instid0(VALU_DEP_3) | instskip(SKIP_1) | instid1(VALU_DEP_4)
	v_cmp_eq_u32_e64 s2, s7, v5
	v_cndmask_b32_e64 v18, 0, -1, vcc_lo
	v_cmp_le_u32_e32 vcc_lo, s7, v16
	v_cndmask_b32_e64 v21, 0, -1, vcc_lo
	v_cmp_le_u32_e32 vcc_lo, s6, v4
	;; [unrolled: 2-line block ×3, first 2 shown]
	v_cndmask_b32_e64 v22, 0, -1, vcc_lo
	v_cmp_eq_u32_e32 vcc_lo, s7, v16
	s_delay_alu instid0(VALU_DEP_2) | instskip(SKIP_3) | instid1(VALU_DEP_3)
	v_cndmask_b32_e64 v4, v22, v4, s2
	v_cndmask_b32_e32 v16, v21, v18, vcc_lo
	v_add_co_u32 v18, vcc_lo, v14, 1
	v_add_co_ci_u32_e32 v21, vcc_lo, 0, v15, vcc_lo
	v_cmp_ne_u32_e32 vcc_lo, 0, v16
	s_delay_alu instid0(VALU_DEP_2) | instskip(SKIP_2) | instid1(VALU_DEP_3)
	v_dual_cndmask_b32 v5, v21, v20 :: v_dual_cndmask_b32 v16, v18, v17
	v_cmp_ne_u32_e32 vcc_lo, 0, v4
	v_xor_b32_e32 v17, s4, v19
	v_dual_cndmask_b32 v4, v15, v5 :: v_dual_cndmask_b32 v5, v14, v16
	s_delay_alu instid0(VALU_DEP_1) | instskip(NEXT) | instid1(VALU_DEP_2)
	v_xor_b32_e32 v14, v4, v17
	v_xor_b32_e32 v5, v5, v17
	s_delay_alu instid0(VALU_DEP_1) | instskip(NEXT) | instid1(VALU_DEP_3)
	v_sub_co_u32 v4, vcc_lo, v5, v17
	v_sub_co_ci_u32_e32 v5, vcc_lo, v14, v17, vcc_lo
.LBB3_19:
	s_and_not1_saveexec_b32 s2, s9
	s_cbranch_execz .LBB3_21
; %bb.20:
	v_cvt_f32_u32_e32 v4, s3
	s_sub_i32 s4, 0, s3
	s_delay_alu instid0(VALU_DEP_1) | instskip(SKIP_2) | instid1(VALU_DEP_1)
	v_rcp_iflag_f32_e32 v4, v4
	s_waitcnt_depctr 0xfff
	v_mul_f32_e32 v4, 0x4f7ffffe, v4
	v_cvt_u32_f32_e32 v4, v4
	s_delay_alu instid0(VALU_DEP_1) | instskip(NEXT) | instid1(VALU_DEP_1)
	v_mul_lo_u32 v5, s4, v4
	v_mul_hi_u32 v5, v4, v5
	s_delay_alu instid0(VALU_DEP_1) | instskip(NEXT) | instid1(VALU_DEP_1)
	v_add_nc_u32_e32 v4, v4, v5
	v_mul_hi_u32 v4, v10, v4
	s_delay_alu instid0(VALU_DEP_1) | instskip(SKIP_1) | instid1(VALU_DEP_2)
	v_mul_lo_u32 v5, v4, s3
	v_add_nc_u32_e32 v14, 1, v4
	v_sub_nc_u32_e32 v5, v10, v5
	s_delay_alu instid0(VALU_DEP_1) | instskip(SKIP_1) | instid1(VALU_DEP_2)
	v_subrev_nc_u32_e32 v15, s3, v5
	v_cmp_le_u32_e32 vcc_lo, s3, v5
	v_dual_cndmask_b32 v5, v5, v15 :: v_dual_cndmask_b32 v4, v4, v14
	s_delay_alu instid0(VALU_DEP_1) | instskip(NEXT) | instid1(VALU_DEP_2)
	v_cmp_le_u32_e32 vcc_lo, s3, v5
	v_dual_mov_b32 v5, 0 :: v_dual_add_nc_u32 v14, 1, v4
	s_delay_alu instid0(VALU_DEP_1)
	v_cndmask_b32_e32 v4, v4, v14, vcc_lo
.LBB3_21:
	s_or_b32 exec_lo, exec_lo, s2
	s_delay_alu instid0(VALU_DEP_1) | instskip(NEXT) | instid1(VALU_DEP_2)
	v_mul_lo_u32 v16, s8, v4
	v_mul_lo_u32 v17, s3, v5
	v_mad_u64_u32 v[14:15], null, s3, v4, 0
	s_delay_alu instid0(VALU_DEP_1) | instskip(NEXT) | instid1(VALU_DEP_2)
	v_add3_u32 v15, v15, v17, v16
	v_sub_co_u32 v14, vcc_lo, v10, v14
	v_mov_b32_e32 v10, 0
	s_delay_alu instid0(VALU_DEP_3) | instskip(NEXT) | instid1(VALU_DEP_1)
	v_sub_co_ci_u32_e32 v15, vcc_lo, v11, v15, vcc_lo
	v_or_b32_e32 v11, s41, v15
	s_delay_alu instid0(VALU_DEP_1) | instskip(SKIP_1) | instid1(SALU_CYCLE_1)
	v_cmp_ne_u64_e32 vcc_lo, 0, v[10:11]
                                        ; implicit-def: $vgpr10_vgpr11
	s_and_saveexec_b32 s2, vcc_lo
	s_xor_b32 s3, exec_lo, s2
	s_cbranch_execz .LBB3_23
; %bb.22:
	s_ashr_i32 s4, s41, 31
	s_delay_alu instid0(SALU_CYCLE_1) | instskip(SKIP_2) | instid1(SALU_CYCLE_1)
	s_add_u32 s6, s40, s4
	s_mov_b32 s5, s4
	s_addc_u32 s7, s41, s4
	s_xor_b64 s[6:7], s[6:7], s[4:5]
	s_delay_alu instid0(SALU_CYCLE_1) | instskip(SKIP_3) | instid1(VALU_DEP_1)
	v_cvt_f32_u32_e32 v10, s6
	v_cvt_f32_u32_e32 v11, s7
	s_sub_u32 s2, 0, s6
	s_subb_u32 s5, 0, s7
	v_fmamk_f32 v10, v11, 0x4f800000, v10
	s_delay_alu instid0(VALU_DEP_1) | instskip(SKIP_2) | instid1(VALU_DEP_1)
	v_rcp_f32_e32 v10, v10
	s_waitcnt_depctr 0xfff
	v_mul_f32_e32 v10, 0x5f7ffffc, v10
	v_mul_f32_e32 v11, 0x2f800000, v10
	s_delay_alu instid0(VALU_DEP_1) | instskip(NEXT) | instid1(VALU_DEP_1)
	v_trunc_f32_e32 v11, v11
	v_fmamk_f32 v10, v11, 0xcf800000, v10
	v_cvt_u32_f32_e32 v11, v11
	s_delay_alu instid0(VALU_DEP_2) | instskip(NEXT) | instid1(VALU_DEP_2)
	v_cvt_u32_f32_e32 v10, v10
	v_mul_lo_u32 v16, s2, v11
	s_delay_alu instid0(VALU_DEP_2) | instskip(SKIP_1) | instid1(VALU_DEP_2)
	v_mul_hi_u32 v17, s2, v10
	v_mul_lo_u32 v18, s5, v10
	v_add_nc_u32_e32 v16, v17, v16
	v_mul_lo_u32 v17, s2, v10
	s_delay_alu instid0(VALU_DEP_2) | instskip(NEXT) | instid1(VALU_DEP_2)
	v_add_nc_u32_e32 v16, v16, v18
	v_mul_hi_u32 v18, v10, v17
	s_delay_alu instid0(VALU_DEP_2)
	v_mul_lo_u32 v19, v10, v16
	v_mul_hi_u32 v20, v10, v16
	v_mul_hi_u32 v21, v11, v17
	v_mul_lo_u32 v17, v11, v17
	v_mul_hi_u32 v22, v11, v16
	v_mul_lo_u32 v16, v11, v16
	v_add_co_u32 v18, vcc_lo, v18, v19
	v_add_co_ci_u32_e32 v19, vcc_lo, 0, v20, vcc_lo
	s_delay_alu instid0(VALU_DEP_2) | instskip(NEXT) | instid1(VALU_DEP_2)
	v_add_co_u32 v17, vcc_lo, v18, v17
	v_add_co_ci_u32_e32 v17, vcc_lo, v19, v21, vcc_lo
	v_add_co_ci_u32_e32 v18, vcc_lo, 0, v22, vcc_lo
	v_ashrrev_i32_e32 v21, 31, v15
	s_delay_alu instid0(VALU_DEP_3) | instskip(NEXT) | instid1(VALU_DEP_3)
	v_add_co_u32 v16, vcc_lo, v17, v16
	v_add_co_ci_u32_e32 v17, vcc_lo, 0, v18, vcc_lo
	s_delay_alu instid0(VALU_DEP_2) | instskip(NEXT) | instid1(VALU_DEP_2)
	v_add_co_u32 v10, vcc_lo, v10, v16
	v_add_co_ci_u32_e32 v11, vcc_lo, v11, v17, vcc_lo
	s_delay_alu instid0(VALU_DEP_2) | instskip(SKIP_1) | instid1(VALU_DEP_3)
	v_mul_hi_u32 v16, s2, v10
	v_mul_lo_u32 v18, s5, v10
	v_mul_lo_u32 v17, s2, v11
	s_delay_alu instid0(VALU_DEP_1) | instskip(SKIP_1) | instid1(VALU_DEP_2)
	v_add_nc_u32_e32 v16, v16, v17
	v_mul_lo_u32 v17, s2, v10
	v_add_nc_u32_e32 v16, v16, v18
	s_delay_alu instid0(VALU_DEP_2) | instskip(NEXT) | instid1(VALU_DEP_2)
	v_mul_hi_u32 v18, v10, v17
	v_mul_lo_u32 v19, v10, v16
	v_mul_hi_u32 v20, v10, v16
	v_mul_hi_u32 v22, v11, v17
	v_mul_lo_u32 v17, v11, v17
	v_mul_hi_u32 v23, v11, v16
	v_mul_lo_u32 v16, v11, v16
	v_add_co_u32 v18, vcc_lo, v18, v19
	v_add_co_ci_u32_e32 v19, vcc_lo, 0, v20, vcc_lo
	s_delay_alu instid0(VALU_DEP_2) | instskip(NEXT) | instid1(VALU_DEP_2)
	v_add_co_u32 v17, vcc_lo, v18, v17
	v_add_co_ci_u32_e32 v17, vcc_lo, v19, v22, vcc_lo
	v_add_co_ci_u32_e32 v18, vcc_lo, 0, v23, vcc_lo
	v_add_co_u32 v19, vcc_lo, v14, v21
	v_add_co_ci_u32_e32 v20, vcc_lo, v15, v21, vcc_lo
	s_delay_alu instid0(VALU_DEP_4) | instskip(NEXT) | instid1(VALU_DEP_4)
	v_add_co_u32 v16, vcc_lo, v17, v16
	v_add_co_ci_u32_e32 v17, vcc_lo, 0, v18, vcc_lo
	s_delay_alu instid0(VALU_DEP_4) | instskip(NEXT) | instid1(VALU_DEP_3)
	v_xor_b32_e32 v22, v19, v21
	v_add_co_u32 v18, vcc_lo, v10, v16
	s_delay_alu instid0(VALU_DEP_3) | instskip(SKIP_1) | instid1(VALU_DEP_3)
	v_add_co_ci_u32_e32 v23, vcc_lo, v11, v17, vcc_lo
	v_xor_b32_e32 v20, v20, v21
	v_mul_hi_u32 v24, v22, v18
	s_delay_alu instid0(VALU_DEP_3) | instskip(NEXT) | instid1(VALU_DEP_3)
	v_mad_u64_u32 v[10:11], null, v22, v23, 0
	v_mad_u64_u32 v[16:17], null, v20, v18, 0
	;; [unrolled: 1-line block ×3, first 2 shown]
	s_delay_alu instid0(VALU_DEP_3) | instskip(NEXT) | instid1(VALU_DEP_4)
	v_add_co_u32 v10, vcc_lo, v24, v10
	v_add_co_ci_u32_e32 v11, vcc_lo, 0, v11, vcc_lo
	s_delay_alu instid0(VALU_DEP_2) | instskip(NEXT) | instid1(VALU_DEP_2)
	v_add_co_u32 v10, vcc_lo, v10, v16
	v_add_co_ci_u32_e32 v10, vcc_lo, v11, v17, vcc_lo
	v_add_co_ci_u32_e32 v11, vcc_lo, 0, v19, vcc_lo
	s_delay_alu instid0(VALU_DEP_2) | instskip(NEXT) | instid1(VALU_DEP_2)
	v_add_co_u32 v16, vcc_lo, v10, v18
	v_add_co_ci_u32_e32 v17, vcc_lo, 0, v11, vcc_lo
	s_delay_alu instid0(VALU_DEP_2) | instskip(SKIP_1) | instid1(VALU_DEP_3)
	v_mul_lo_u32 v18, s7, v16
	v_mad_u64_u32 v[10:11], null, s6, v16, 0
	v_mul_lo_u32 v19, s6, v17
	s_delay_alu instid0(VALU_DEP_2) | instskip(NEXT) | instid1(VALU_DEP_2)
	v_sub_co_u32 v10, vcc_lo, v22, v10
	v_add3_u32 v11, v11, v19, v18
	s_delay_alu instid0(VALU_DEP_1) | instskip(NEXT) | instid1(VALU_DEP_1)
	v_sub_nc_u32_e32 v18, v20, v11
	v_subrev_co_ci_u32_e64 v18, s2, s7, v18, vcc_lo
	v_add_co_u32 v19, s2, v16, 2
	s_delay_alu instid0(VALU_DEP_1) | instskip(SKIP_3) | instid1(VALU_DEP_3)
	v_add_co_ci_u32_e64 v22, s2, 0, v17, s2
	v_sub_co_u32 v23, s2, v10, s6
	v_sub_co_ci_u32_e32 v11, vcc_lo, v20, v11, vcc_lo
	v_subrev_co_ci_u32_e64 v18, s2, 0, v18, s2
	v_cmp_le_u32_e32 vcc_lo, s6, v23
	s_delay_alu instid0(VALU_DEP_3) | instskip(SKIP_1) | instid1(VALU_DEP_4)
	v_cmp_eq_u32_e64 s2, s7, v11
	v_cndmask_b32_e64 v20, 0, -1, vcc_lo
	v_cmp_le_u32_e32 vcc_lo, s7, v18
	v_cndmask_b32_e64 v23, 0, -1, vcc_lo
	v_cmp_le_u32_e32 vcc_lo, s6, v10
	;; [unrolled: 2-line block ×3, first 2 shown]
	v_cndmask_b32_e64 v24, 0, -1, vcc_lo
	v_cmp_eq_u32_e32 vcc_lo, s7, v18
	s_delay_alu instid0(VALU_DEP_2) | instskip(SKIP_3) | instid1(VALU_DEP_3)
	v_cndmask_b32_e64 v10, v24, v10, s2
	v_cndmask_b32_e32 v18, v23, v20, vcc_lo
	v_add_co_u32 v20, vcc_lo, v16, 1
	v_add_co_ci_u32_e32 v23, vcc_lo, 0, v17, vcc_lo
	v_cmp_ne_u32_e32 vcc_lo, 0, v18
	s_delay_alu instid0(VALU_DEP_2) | instskip(SKIP_2) | instid1(VALU_DEP_3)
	v_dual_cndmask_b32 v11, v23, v22 :: v_dual_cndmask_b32 v18, v20, v19
	v_cmp_ne_u32_e32 vcc_lo, 0, v10
	v_xor_b32_e32 v19, s4, v21
	v_dual_cndmask_b32 v10, v17, v11 :: v_dual_cndmask_b32 v11, v16, v18
	s_delay_alu instid0(VALU_DEP_1) | instskip(NEXT) | instid1(VALU_DEP_2)
	v_xor_b32_e32 v16, v10, v19
	v_xor_b32_e32 v11, v11, v19
	s_delay_alu instid0(VALU_DEP_1) | instskip(NEXT) | instid1(VALU_DEP_3)
	v_sub_co_u32 v10, vcc_lo, v11, v19
	v_sub_co_ci_u32_e32 v11, vcc_lo, v16, v19, vcc_lo
.LBB3_23:
	s_and_not1_saveexec_b32 s2, s3
	s_cbranch_execz .LBB3_25
; %bb.24:
	v_cvt_f32_u32_e32 v10, s40
	s_sub_i32 s3, 0, s40
	s_delay_alu instid0(VALU_DEP_1) | instskip(SKIP_2) | instid1(VALU_DEP_1)
	v_rcp_iflag_f32_e32 v10, v10
	s_waitcnt_depctr 0xfff
	v_mul_f32_e32 v10, 0x4f7ffffe, v10
	v_cvt_u32_f32_e32 v10, v10
	s_delay_alu instid0(VALU_DEP_1) | instskip(NEXT) | instid1(VALU_DEP_1)
	v_mul_lo_u32 v11, s3, v10
	v_mul_hi_u32 v11, v10, v11
	s_delay_alu instid0(VALU_DEP_1) | instskip(NEXT) | instid1(VALU_DEP_1)
	v_add_nc_u32_e32 v10, v10, v11
	v_mul_hi_u32 v10, v14, v10
	s_delay_alu instid0(VALU_DEP_1) | instskip(SKIP_1) | instid1(VALU_DEP_2)
	v_mul_lo_u32 v11, v10, s40
	v_add_nc_u32_e32 v16, 1, v10
	v_sub_nc_u32_e32 v11, v14, v11
	s_delay_alu instid0(VALU_DEP_1) | instskip(SKIP_1) | instid1(VALU_DEP_2)
	v_subrev_nc_u32_e32 v17, s40, v11
	v_cmp_le_u32_e32 vcc_lo, s40, v11
	v_dual_cndmask_b32 v11, v11, v17 :: v_dual_cndmask_b32 v10, v10, v16
	s_delay_alu instid0(VALU_DEP_1) | instskip(NEXT) | instid1(VALU_DEP_2)
	v_cmp_le_u32_e32 vcc_lo, s40, v11
	v_dual_mov_b32 v11, 0 :: v_dual_add_nc_u32 v16, 1, v10
	s_delay_alu instid0(VALU_DEP_1)
	v_cndmask_b32_e32 v10, v10, v16, vcc_lo
.LBB3_25:
	s_or_b32 exec_lo, exec_lo, s2
	v_mul_lo_u32 v18, v7, s22
	v_mul_lo_u32 v19, v6, s23
	v_mad_u64_u32 v[16:17], null, v6, s22, 0
	v_mul_lo_u32 v7, v7, s30
	v_mul_lo_u32 v3, v3, s36
	s_load_b64 s[0:1], s[0:1], 0x80
	s_delay_alu instid0(VALU_DEP_3) | instskip(NEXT) | instid1(VALU_DEP_4)
	v_add3_u32 v17, v17, v19, v18
	v_sub_co_u32 v12, vcc_lo, v12, v16
	s_delay_alu instid0(VALU_DEP_2) | instskip(NEXT) | instid1(VALU_DEP_1)
	v_sub_co_ci_u32_e32 v13, vcc_lo, v13, v17, vcc_lo
	v_ashrrev_i32_e32 v16, 31, v13
	s_delay_alu instid0(VALU_DEP_1) | instskip(SKIP_2) | instid1(VALU_DEP_2)
	v_lshrrev_b32_e32 v16, 27, v16
	s_waitcnt lgkmcnt(0)
	v_mul_lo_u32 v9, v9, s0
	v_add_co_u32 v12, vcc_lo, v12, v16
	v_add_co_ci_u32_e32 v13, vcc_lo, 0, v13, vcc_lo
	s_delay_alu instid0(VALU_DEP_1) | instskip(NEXT) | instid1(VALU_DEP_1)
	v_ashrrev_i64 v[12:13], 5, v[12:13]
	v_mul_lo_u32 v18, v12, s29
	s_delay_alu instid0(VALU_DEP_2) | instskip(SKIP_1) | instid1(VALU_DEP_1)
	v_mul_lo_u32 v13, v13, s28
	v_mad_u64_u32 v[16:17], null, v12, s28, s[16:17]
	v_add3_u32 v17, v13, v17, v18
	v_mul_lo_u32 v18, v6, s31
	s_delay_alu instid0(VALU_DEP_2) | instskip(SKIP_1) | instid1(VALU_DEP_2)
	v_mad_u64_u32 v[12:13], null, v6, s30, v[16:17]
	v_mul_lo_u32 v16, v2, s37
	v_add3_u32 v13, v7, v13, v18
	s_delay_alu instid0(VALU_DEP_1) | instskip(SKIP_1) | instid1(VALU_DEP_2)
	v_mad_u64_u32 v[6:7], null, v2, s36, v[12:13]
	v_mul_lo_u32 v12, v1, s38
	v_add3_u32 v7, v3, v7, v16
	v_mul_lo_u32 v3, v0, s39
	s_delay_alu instid0(VALU_DEP_2) | instskip(SKIP_1) | instid1(VALU_DEP_2)
	v_mad_u64_u32 v[1:2], null, v0, s38, v[6:7]
	v_mad_u64_u32 v[6:7], null, v10, s40, 0
	v_add3_u32 v2, v12, v2, v3
	s_clause 0x1
	global_load_u8 v0, v[1:2], off offset:2
	global_load_u16 v13, v[1:2], off
	v_mul_lo_u32 v3, v11, s40
	v_mul_lo_u32 v12, v10, s41
	s_delay_alu instid0(VALU_DEP_1) | instskip(SKIP_1) | instid1(VALU_DEP_2)
	v_add3_u32 v3, v7, v12, v3
	v_sub_co_u32 v12, vcc_lo, v14, v6
	v_sub_co_ci_u32_e32 v3, vcc_lo, v15, v3, vcc_lo
	s_delay_alu instid0(VALU_DEP_2) | instskip(SKIP_1) | instid1(VALU_DEP_3)
	v_mul_lo_u32 v14, v12, s47
	v_mad_u64_u32 v[6:7], null, v12, s46, s[18:19]
	v_mul_lo_u32 v3, v3, s46
	s_delay_alu instid0(VALU_DEP_1) | instskip(SKIP_2) | instid1(VALU_DEP_3)
	v_add3_u32 v7, v3, v7, v14
	v_mul_lo_u32 v3, v10, s49
	v_mul_lo_u32 v14, v11, s48
	v_mad_u64_u32 v[11:12], null, v10, s48, v[6:7]
	v_mul_lo_u32 v7, v5, s50
	v_mul_lo_u32 v10, v8, s1
	s_delay_alu instid0(VALU_DEP_3) | instskip(SKIP_1) | instid1(VALU_DEP_2)
	v_add3_u32 v12, v14, v12, v3
	v_mul_lo_u32 v3, v4, s51
	v_mad_u64_u32 v[5:6], null, v4, s50, v[11:12]
	s_delay_alu instid0(VALU_DEP_1) | instskip(NEXT) | instid1(VALU_DEP_1)
	v_add3_u32 v6, v7, v6, v3
	v_mad_u64_u32 v[3:4], null, v8, s0, v[5:6]
	s_delay_alu instid0(VALU_DEP_1)
	v_add3_u32 v4, v9, v4, v10
	s_waitcnt vmcnt(1)
	v_and_b32_e32 v7, 15, v0
	v_lshrrev_b32_e32 v0, 4, v0
	s_waitcnt vmcnt(0)
	v_cvt_f32_f16_e32 v6, v13
	s_delay_alu instid0(VALU_DEP_2) | instskip(NEXT) | instid1(VALU_DEP_1)
	v_add_nc_u32_e32 v0, -8, v0
	v_cvt_f32_i32_e32 v0, v0
	s_delay_alu instid0(VALU_DEP_1) | instskip(NEXT) | instid1(VALU_DEP_1)
	v_dual_mul_f32 v0, v6, v0 :: v_dual_add_nc_u32 v5, -8, v7
	v_cvt_f32_i32_e32 v5, v5
	s_delay_alu instid0(VALU_DEP_1)
	v_mul_f32_e32 v5, v6, v5
	s_clause 0x1
	global_store_b32 v[3:4], v5, off
	global_store_b32 v[3:4], v0, off offset:64
	s_clause 0x1
	global_load_u8 v0, v[1:2], off offset:3
	global_load_u16 v5, v[1:2], off
	s_waitcnt vmcnt(1)
	v_and_b32_e32 v6, 15, v0
	v_lshrrev_b32_e32 v0, 4, v0
	s_waitcnt vmcnt(0)
	v_cvt_f32_f16_e32 v5, v5
	s_delay_alu instid0(VALU_DEP_3) | instskip(NEXT) | instid1(VALU_DEP_3)
	v_add_nc_u32_e32 v6, -8, v6
	v_add_nc_u32_e32 v0, -8, v0
	s_delay_alu instid0(VALU_DEP_2) | instskip(NEXT) | instid1(VALU_DEP_2)
	v_cvt_f32_i32_e32 v6, v6
	v_cvt_f32_i32_e32 v0, v0
	s_delay_alu instid0(VALU_DEP_2) | instskip(NEXT) | instid1(VALU_DEP_2)
	v_mul_f32_e32 v6, v5, v6
	v_mul_f32_e32 v0, v5, v0
	s_clause 0x1
	global_store_b32 v[3:4], v6, off offset:4
	global_store_b32 v[3:4], v0, off offset:68
	s_clause 0x1
	global_load_u8 v0, v[1:2], off offset:4
	global_load_u16 v5, v[1:2], off
	s_waitcnt vmcnt(1)
	v_and_b32_e32 v6, 15, v0
	v_lshrrev_b32_e32 v0, 4, v0
	s_waitcnt vmcnt(0)
	v_cvt_f32_f16_e32 v5, v5
	s_delay_alu instid0(VALU_DEP_3) | instskip(NEXT) | instid1(VALU_DEP_3)
	v_add_nc_u32_e32 v6, -8, v6
	v_add_nc_u32_e32 v0, -8, v0
	s_delay_alu instid0(VALU_DEP_2) | instskip(NEXT) | instid1(VALU_DEP_2)
	v_cvt_f32_i32_e32 v6, v6
	v_cvt_f32_i32_e32 v0, v0
	s_delay_alu instid0(VALU_DEP_2) | instskip(NEXT) | instid1(VALU_DEP_2)
	v_mul_f32_e32 v6, v5, v6
	v_mul_f32_e32 v0, v5, v0
	s_clause 0x1
	global_store_b32 v[3:4], v6, off offset:8
	;; [unrolled: 20-line block ×15, first 2 shown]
	global_store_b32 v[3:4], v0, off offset:124
.LBB3_26:
	s_nop 0
	s_sendmsg sendmsg(MSG_DEALLOC_VGPRS)
	s_endpgm
	.section	.rodata,"a",@progbits
	.p2align	6, 0x0
	.amdhsa_kernel _ZL9cpy_q_f32IXadL_ZL14cpy_blck_q_f32IXadL_ZL15dequantize_q4_0PKvliR15HIP_vector_typeIfLj2EEEELi32EEvPKcPcEELi32EEvS7_S8_lllllllllllllll
		.amdhsa_group_segment_fixed_size 0
		.amdhsa_private_segment_fixed_size 0
		.amdhsa_kernarg_size 392
		.amdhsa_user_sgpr_count 15
		.amdhsa_user_sgpr_dispatch_ptr 0
		.amdhsa_user_sgpr_queue_ptr 0
		.amdhsa_user_sgpr_kernarg_segment_ptr 1
		.amdhsa_user_sgpr_dispatch_id 0
		.amdhsa_user_sgpr_private_segment_size 0
		.amdhsa_wavefront_size32 1
		.amdhsa_uses_dynamic_stack 0
		.amdhsa_enable_private_segment 0
		.amdhsa_system_sgpr_workgroup_id_x 1
		.amdhsa_system_sgpr_workgroup_id_y 0
		.amdhsa_system_sgpr_workgroup_id_z 0
		.amdhsa_system_sgpr_workgroup_info 0
		.amdhsa_system_vgpr_workitem_id 0
		.amdhsa_next_free_vgpr 25
		.amdhsa_next_free_sgpr 52
		.amdhsa_reserve_vcc 1
		.amdhsa_float_round_mode_32 0
		.amdhsa_float_round_mode_16_64 0
		.amdhsa_float_denorm_mode_32 3
		.amdhsa_float_denorm_mode_16_64 3
		.amdhsa_dx10_clamp 1
		.amdhsa_ieee_mode 1
		.amdhsa_fp16_overflow 0
		.amdhsa_workgroup_processor_mode 1
		.amdhsa_memory_ordered 1
		.amdhsa_forward_progress 0
		.amdhsa_shared_vgpr_count 0
		.amdhsa_exception_fp_ieee_invalid_op 0
		.amdhsa_exception_fp_denorm_src 0
		.amdhsa_exception_fp_ieee_div_zero 0
		.amdhsa_exception_fp_ieee_overflow 0
		.amdhsa_exception_fp_ieee_underflow 0
		.amdhsa_exception_fp_ieee_inexact 0
		.amdhsa_exception_int_div_zero 0
	.end_amdhsa_kernel
	.section	.text._ZL9cpy_q_f32IXadL_ZL14cpy_blck_q_f32IXadL_ZL15dequantize_q4_0PKvliR15HIP_vector_typeIfLj2EEEELi32EEvPKcPcEELi32EEvS7_S8_lllllllllllllll,"axG",@progbits,_ZL9cpy_q_f32IXadL_ZL14cpy_blck_q_f32IXadL_ZL15dequantize_q4_0PKvliR15HIP_vector_typeIfLj2EEEELi32EEvPKcPcEELi32EEvS7_S8_lllllllllllllll,comdat
.Lfunc_end3:
	.size	_ZL9cpy_q_f32IXadL_ZL14cpy_blck_q_f32IXadL_ZL15dequantize_q4_0PKvliR15HIP_vector_typeIfLj2EEEELi32EEvPKcPcEELi32EEvS7_S8_lllllllllllllll, .Lfunc_end3-_ZL9cpy_q_f32IXadL_ZL14cpy_blck_q_f32IXadL_ZL15dequantize_q4_0PKvliR15HIP_vector_typeIfLj2EEEELi32EEvPKcPcEELi32EEvS7_S8_lllllllllllllll
                                        ; -- End function
	.section	.AMDGPU.csdata,"",@progbits
; Kernel info:
; codeLenInByte = 8316
; NumSgprs: 54
; NumVgprs: 25
; ScratchSize: 0
; MemoryBound: 0
; FloatMode: 240
; IeeeMode: 1
; LDSByteSize: 0 bytes/workgroup (compile time only)
; SGPRBlocks: 6
; VGPRBlocks: 3
; NumSGPRsForWavesPerEU: 54
; NumVGPRsForWavesPerEU: 25
; Occupancy: 16
; WaveLimiterHint : 0
; COMPUTE_PGM_RSRC2:SCRATCH_EN: 0
; COMPUTE_PGM_RSRC2:USER_SGPR: 15
; COMPUTE_PGM_RSRC2:TRAP_HANDLER: 0
; COMPUTE_PGM_RSRC2:TGID_X_EN: 1
; COMPUTE_PGM_RSRC2:TGID_Y_EN: 0
; COMPUTE_PGM_RSRC2:TGID_Z_EN: 0
; COMPUTE_PGM_RSRC2:TIDIG_COMP_CNT: 0
	.section	.text._ZL9cpy_f32_qIXadL_ZL17cpy_blck_f32_q4_1PKcPcEELi32EEvS1_S2_lllllllllllllll,"axG",@progbits,_ZL9cpy_f32_qIXadL_ZL17cpy_blck_f32_q4_1PKcPcEELi32EEvS1_S2_lllllllllllllll,comdat
	.globl	_ZL9cpy_f32_qIXadL_ZL17cpy_blck_f32_q4_1PKcPcEELi32EEvS1_S2_lllllllllllllll ; -- Begin function _ZL9cpy_f32_qIXadL_ZL17cpy_blck_f32_q4_1PKcPcEELi32EEvS1_S2_lllllllllllllll
	.p2align	8
	.type	_ZL9cpy_f32_qIXadL_ZL17cpy_blck_f32_q4_1PKcPcEELi32EEvS1_S2_lllllllllllllll,@function
_ZL9cpy_f32_qIXadL_ZL17cpy_blck_f32_q4_1PKcPcEELi32EEvS1_S2_lllllllllllllll: ; @_ZL9cpy_f32_qIXadL_ZL17cpy_blck_f32_q4_1PKcPcEELi32EEvS1_S2_lllllllllllllll
; %bb.0:
	s_load_b32 s2, s[0:1], 0x94
	v_mov_b32_e32 v2, 0
	s_load_b512 s[16:31], s[0:1], 0x0
	s_delay_alu instid0(VALU_DEP_1)
	v_mov_b32_e32 v1, v2
	s_waitcnt lgkmcnt(0)
	s_and_b32 s2, s2, 0xffff
	s_delay_alu instid0(VALU_DEP_1) | instid1(SALU_CYCLE_1)
	v_mad_u64_u32 v[3:4], null, s2, s15, v[0:1]
	s_mov_b32 s2, exec_lo
	s_delay_alu instid0(VALU_DEP_1) | instskip(NEXT) | instid1(VALU_DEP_1)
	v_lshlrev_b64 v[4:5], 5, v[3:4]
	v_cmpx_gt_i64_e64 s[20:21], v[4:5]
	s_cbranch_execz .LBB4_26
; %bb.1:
	s_mul_i32 s2, s24, s23
	s_mul_hi_u32 s3, s24, s22
                                        ; implicit-def: $vgpr0_vgpr1
	s_delay_alu instid0(SALU_CYCLE_1)
	s_add_i32 s8, s3, s2
	s_mul_i32 s3, s24, s22
	s_mul_i32 s2, s25, s22
	;; [unrolled: 1-line block ×3, first 2 shown]
	s_mul_hi_u32 s5, s3, s26
	s_add_i32 s8, s8, s2
	s_add_i32 s2, s5, s4
	s_mul_i32 s4, s8, s26
	s_mul_i32 s10, s3, s26
	s_add_i32 s9, s2, s4
	s_mov_b32 s2, exec_lo
	v_or_b32_e32 v3, s9, v5
	s_delay_alu instid0(VALU_DEP_1)
	v_cmpx_ne_u64_e32 0, v[2:3]
	s_xor_b32 s11, exec_lo, s2
	s_cbranch_execz .LBB4_3
; %bb.2:
	s_ashr_i32 s4, s9, 31
	s_delay_alu instid0(SALU_CYCLE_1) | instskip(SKIP_2) | instid1(SALU_CYCLE_1)
	s_add_u32 s6, s10, s4
	s_mov_b32 s5, s4
	s_addc_u32 s7, s9, s4
	s_xor_b64 s[6:7], s[6:7], s[4:5]
	s_delay_alu instid0(SALU_CYCLE_1) | instskip(SKIP_3) | instid1(VALU_DEP_1)
	v_cvt_f32_u32_e32 v0, s6
	v_cvt_f32_u32_e32 v1, s7
	s_sub_u32 s2, 0, s6
	s_subb_u32 s5, 0, s7
	v_fmamk_f32 v0, v1, 0x4f800000, v0
	s_delay_alu instid0(VALU_DEP_1) | instskip(SKIP_2) | instid1(VALU_DEP_1)
	v_rcp_f32_e32 v0, v0
	s_waitcnt_depctr 0xfff
	v_mul_f32_e32 v0, 0x5f7ffffc, v0
	v_mul_f32_e32 v1, 0x2f800000, v0
	s_delay_alu instid0(VALU_DEP_1) | instskip(NEXT) | instid1(VALU_DEP_1)
	v_trunc_f32_e32 v1, v1
	v_fmamk_f32 v0, v1, 0xcf800000, v0
	v_cvt_u32_f32_e32 v1, v1
	s_delay_alu instid0(VALU_DEP_2) | instskip(NEXT) | instid1(VALU_DEP_2)
	v_cvt_u32_f32_e32 v0, v0
	v_mul_lo_u32 v2, s2, v1
	s_delay_alu instid0(VALU_DEP_2) | instskip(SKIP_1) | instid1(VALU_DEP_2)
	v_mul_hi_u32 v3, s2, v0
	v_mul_lo_u32 v6, s5, v0
	v_add_nc_u32_e32 v2, v3, v2
	v_mul_lo_u32 v3, s2, v0
	s_delay_alu instid0(VALU_DEP_2) | instskip(NEXT) | instid1(VALU_DEP_2)
	v_add_nc_u32_e32 v2, v2, v6
	v_mul_hi_u32 v6, v0, v3
	s_delay_alu instid0(VALU_DEP_2)
	v_mul_lo_u32 v7, v0, v2
	v_mul_hi_u32 v8, v0, v2
	v_mul_hi_u32 v9, v1, v3
	v_mul_lo_u32 v3, v1, v3
	v_mul_hi_u32 v10, v1, v2
	v_mul_lo_u32 v2, v1, v2
	v_add_co_u32 v6, vcc_lo, v6, v7
	v_add_co_ci_u32_e32 v7, vcc_lo, 0, v8, vcc_lo
	s_delay_alu instid0(VALU_DEP_2) | instskip(NEXT) | instid1(VALU_DEP_2)
	v_add_co_u32 v3, vcc_lo, v6, v3
	v_add_co_ci_u32_e32 v3, vcc_lo, v7, v9, vcc_lo
	v_add_co_ci_u32_e32 v6, vcc_lo, 0, v10, vcc_lo
	s_delay_alu instid0(VALU_DEP_2) | instskip(NEXT) | instid1(VALU_DEP_2)
	v_add_co_u32 v2, vcc_lo, v3, v2
	v_add_co_ci_u32_e32 v3, vcc_lo, 0, v6, vcc_lo
	s_delay_alu instid0(VALU_DEP_2) | instskip(NEXT) | instid1(VALU_DEP_2)
	v_add_co_u32 v0, vcc_lo, v0, v2
	v_add_co_ci_u32_e32 v1, vcc_lo, v1, v3, vcc_lo
	s_delay_alu instid0(VALU_DEP_2) | instskip(SKIP_1) | instid1(VALU_DEP_3)
	v_mul_hi_u32 v2, s2, v0
	v_mul_lo_u32 v6, s5, v0
	v_mul_lo_u32 v3, s2, v1
	s_delay_alu instid0(VALU_DEP_1) | instskip(SKIP_1) | instid1(VALU_DEP_2)
	v_add_nc_u32_e32 v2, v2, v3
	v_mul_lo_u32 v3, s2, v0
	v_add_nc_u32_e32 v2, v2, v6
	s_delay_alu instid0(VALU_DEP_2) | instskip(NEXT) | instid1(VALU_DEP_2)
	v_mul_hi_u32 v6, v0, v3
	v_mul_lo_u32 v7, v0, v2
	v_mul_hi_u32 v8, v0, v2
	v_mul_hi_u32 v9, v1, v3
	v_mul_lo_u32 v3, v1, v3
	v_mul_hi_u32 v10, v1, v2
	v_mul_lo_u32 v2, v1, v2
	v_add_co_u32 v6, vcc_lo, v6, v7
	v_add_co_ci_u32_e32 v7, vcc_lo, 0, v8, vcc_lo
	s_delay_alu instid0(VALU_DEP_2) | instskip(NEXT) | instid1(VALU_DEP_2)
	v_add_co_u32 v3, vcc_lo, v6, v3
	v_add_co_ci_u32_e32 v3, vcc_lo, v7, v9, vcc_lo
	v_add_co_ci_u32_e32 v6, vcc_lo, 0, v10, vcc_lo
	s_delay_alu instid0(VALU_DEP_2) | instskip(NEXT) | instid1(VALU_DEP_2)
	v_add_co_u32 v2, vcc_lo, v3, v2
	v_add_co_ci_u32_e32 v3, vcc_lo, 0, v6, vcc_lo
	s_delay_alu instid0(VALU_DEP_2) | instskip(NEXT) | instid1(VALU_DEP_2)
	v_add_co_u32 v6, vcc_lo, v0, v2
	v_add_co_ci_u32_e32 v8, vcc_lo, v1, v3, vcc_lo
	s_delay_alu instid0(VALU_DEP_2) | instskip(SKIP_1) | instid1(VALU_DEP_3)
	v_mul_hi_u32 v9, v4, v6
	v_mad_u64_u32 v[2:3], null, v5, v6, 0
	v_mad_u64_u32 v[0:1], null, v4, v8, 0
	;; [unrolled: 1-line block ×3, first 2 shown]
	s_delay_alu instid0(VALU_DEP_2) | instskip(NEXT) | instid1(VALU_DEP_3)
	v_add_co_u32 v0, vcc_lo, v9, v0
	v_add_co_ci_u32_e32 v1, vcc_lo, 0, v1, vcc_lo
	s_delay_alu instid0(VALU_DEP_2) | instskip(NEXT) | instid1(VALU_DEP_2)
	v_add_co_u32 v0, vcc_lo, v0, v2
	v_add_co_ci_u32_e32 v0, vcc_lo, v1, v3, vcc_lo
	v_add_co_ci_u32_e32 v1, vcc_lo, 0, v7, vcc_lo
	s_delay_alu instid0(VALU_DEP_2) | instskip(NEXT) | instid1(VALU_DEP_2)
	v_add_co_u32 v2, vcc_lo, v0, v6
	v_add_co_ci_u32_e32 v3, vcc_lo, 0, v1, vcc_lo
	s_delay_alu instid0(VALU_DEP_2) | instskip(SKIP_1) | instid1(VALU_DEP_3)
	v_mul_lo_u32 v6, s7, v2
	v_mad_u64_u32 v[0:1], null, s6, v2, 0
	v_mul_lo_u32 v7, s6, v3
	s_delay_alu instid0(VALU_DEP_2) | instskip(NEXT) | instid1(VALU_DEP_2)
	v_sub_co_u32 v0, vcc_lo, v4, v0
	v_add3_u32 v1, v1, v7, v6
	s_delay_alu instid0(VALU_DEP_1) | instskip(NEXT) | instid1(VALU_DEP_1)
	v_sub_nc_u32_e32 v6, v5, v1
	v_subrev_co_ci_u32_e64 v6, s2, s7, v6, vcc_lo
	v_add_co_u32 v7, s2, v2, 2
	s_delay_alu instid0(VALU_DEP_1) | instskip(SKIP_3) | instid1(VALU_DEP_3)
	v_add_co_ci_u32_e64 v8, s2, 0, v3, s2
	v_sub_co_u32 v9, s2, v0, s6
	v_sub_co_ci_u32_e32 v1, vcc_lo, v5, v1, vcc_lo
	v_subrev_co_ci_u32_e64 v6, s2, 0, v6, s2
	v_cmp_le_u32_e32 vcc_lo, s6, v9
	s_delay_alu instid0(VALU_DEP_3) | instskip(SKIP_1) | instid1(VALU_DEP_4)
	v_cmp_eq_u32_e64 s2, s7, v1
	v_cndmask_b32_e64 v9, 0, -1, vcc_lo
	v_cmp_le_u32_e32 vcc_lo, s7, v6
	v_cndmask_b32_e64 v10, 0, -1, vcc_lo
	v_cmp_le_u32_e32 vcc_lo, s6, v0
	;; [unrolled: 2-line block ×3, first 2 shown]
	v_cndmask_b32_e64 v11, 0, -1, vcc_lo
	v_cmp_eq_u32_e32 vcc_lo, s7, v6
	s_delay_alu instid0(VALU_DEP_2) | instskip(SKIP_3) | instid1(VALU_DEP_3)
	v_cndmask_b32_e64 v0, v11, v0, s2
	v_cndmask_b32_e32 v6, v10, v9, vcc_lo
	v_add_co_u32 v9, vcc_lo, v2, 1
	v_add_co_ci_u32_e32 v10, vcc_lo, 0, v3, vcc_lo
	v_cmp_ne_u32_e32 vcc_lo, 0, v6
	s_delay_alu instid0(VALU_DEP_2) | instskip(SKIP_1) | instid1(VALU_DEP_2)
	v_dual_cndmask_b32 v1, v10, v8 :: v_dual_cndmask_b32 v6, v9, v7
	v_cmp_ne_u32_e32 vcc_lo, 0, v0
	v_dual_cndmask_b32 v0, v3, v1 :: v_dual_cndmask_b32 v1, v2, v6
	s_delay_alu instid0(VALU_DEP_1) | instskip(NEXT) | instid1(VALU_DEP_2)
	v_xor_b32_e32 v2, s4, v0
	v_xor_b32_e32 v1, s4, v1
	s_delay_alu instid0(VALU_DEP_1) | instskip(NEXT) | instid1(VALU_DEP_3)
	v_sub_co_u32 v0, vcc_lo, v1, s4
	v_subrev_co_ci_u32_e32 v1, vcc_lo, s4, v2, vcc_lo
.LBB4_3:
	s_and_not1_saveexec_b32 s2, s11
	s_cbranch_execz .LBB4_5
; %bb.4:
	v_cvt_f32_u32_e32 v0, s10
	s_sub_i32 s4, 0, s10
	s_delay_alu instid0(VALU_DEP_1) | instskip(SKIP_2) | instid1(VALU_DEP_1)
	v_rcp_iflag_f32_e32 v0, v0
	s_waitcnt_depctr 0xfff
	v_mul_f32_e32 v0, 0x4f7ffffe, v0
	v_cvt_u32_f32_e32 v0, v0
	s_delay_alu instid0(VALU_DEP_1) | instskip(NEXT) | instid1(VALU_DEP_1)
	v_mul_lo_u32 v1, s4, v0
	v_mul_hi_u32 v1, v0, v1
	s_delay_alu instid0(VALU_DEP_1) | instskip(NEXT) | instid1(VALU_DEP_1)
	v_add_nc_u32_e32 v0, v0, v1
	v_mul_hi_u32 v0, v4, v0
	s_delay_alu instid0(VALU_DEP_1) | instskip(SKIP_1) | instid1(VALU_DEP_2)
	v_mul_lo_u32 v1, v0, s10
	v_add_nc_u32_e32 v2, 1, v0
	v_sub_nc_u32_e32 v1, v4, v1
	s_delay_alu instid0(VALU_DEP_1) | instskip(SKIP_1) | instid1(VALU_DEP_2)
	v_subrev_nc_u32_e32 v3, s10, v1
	v_cmp_le_u32_e32 vcc_lo, s10, v1
	v_dual_cndmask_b32 v1, v1, v3 :: v_dual_cndmask_b32 v0, v0, v2
	s_delay_alu instid0(VALU_DEP_1) | instskip(NEXT) | instid1(VALU_DEP_2)
	v_cmp_le_u32_e32 vcc_lo, s10, v1
	v_dual_mov_b32 v1, 0 :: v_dual_add_nc_u32 v2, 1, v0
	s_delay_alu instid0(VALU_DEP_1)
	v_cndmask_b32_e32 v0, v0, v2, vcc_lo
.LBB4_5:
	s_or_b32 exec_lo, exec_lo, s2
	s_delay_alu instid0(VALU_DEP_1) | instskip(NEXT) | instid1(VALU_DEP_2)
	v_mul_lo_u32 v6, s9, v0
	v_mul_lo_u32 v7, s10, v1
	v_mad_u64_u32 v[2:3], null, s10, v0, 0
	s_delay_alu instid0(VALU_DEP_1) | instskip(NEXT) | instid1(VALU_DEP_2)
	v_add3_u32 v3, v3, v7, v6
	v_sub_co_u32 v6, vcc_lo, v4, v2
	v_mov_b32_e32 v2, 0
	s_delay_alu instid0(VALU_DEP_3) | instskip(NEXT) | instid1(VALU_DEP_1)
	v_sub_co_ci_u32_e32 v7, vcc_lo, v5, v3, vcc_lo
	v_or_b32_e32 v3, s8, v7
	s_delay_alu instid0(VALU_DEP_1) | instskip(SKIP_1) | instid1(SALU_CYCLE_1)
	v_cmp_ne_u64_e32 vcc_lo, 0, v[2:3]
                                        ; implicit-def: $vgpr2_vgpr3
	s_and_saveexec_b32 s2, vcc_lo
	s_xor_b32 s9, exec_lo, s2
	s_cbranch_execz .LBB4_7
; %bb.6:
	s_ashr_i32 s4, s8, 31
	s_delay_alu instid0(SALU_CYCLE_1) | instskip(SKIP_2) | instid1(SALU_CYCLE_1)
	s_add_u32 s6, s3, s4
	s_mov_b32 s5, s4
	s_addc_u32 s7, s8, s4
	s_xor_b64 s[6:7], s[6:7], s[4:5]
	s_delay_alu instid0(SALU_CYCLE_1) | instskip(SKIP_3) | instid1(VALU_DEP_1)
	v_cvt_f32_u32_e32 v2, s6
	v_cvt_f32_u32_e32 v3, s7
	s_sub_u32 s2, 0, s6
	s_subb_u32 s5, 0, s7
	v_fmamk_f32 v2, v3, 0x4f800000, v2
	s_delay_alu instid0(VALU_DEP_1) | instskip(SKIP_2) | instid1(VALU_DEP_1)
	v_rcp_f32_e32 v2, v2
	s_waitcnt_depctr 0xfff
	v_mul_f32_e32 v2, 0x5f7ffffc, v2
	v_mul_f32_e32 v3, 0x2f800000, v2
	s_delay_alu instid0(VALU_DEP_1) | instskip(NEXT) | instid1(VALU_DEP_1)
	v_trunc_f32_e32 v3, v3
	v_fmamk_f32 v2, v3, 0xcf800000, v2
	v_cvt_u32_f32_e32 v3, v3
	s_delay_alu instid0(VALU_DEP_2) | instskip(NEXT) | instid1(VALU_DEP_2)
	v_cvt_u32_f32_e32 v2, v2
	v_mul_lo_u32 v8, s2, v3
	s_delay_alu instid0(VALU_DEP_2) | instskip(SKIP_1) | instid1(VALU_DEP_2)
	v_mul_hi_u32 v9, s2, v2
	v_mul_lo_u32 v10, s5, v2
	v_add_nc_u32_e32 v8, v9, v8
	v_mul_lo_u32 v9, s2, v2
	s_delay_alu instid0(VALU_DEP_2) | instskip(NEXT) | instid1(VALU_DEP_2)
	v_add_nc_u32_e32 v8, v8, v10
	v_mul_hi_u32 v10, v2, v9
	s_delay_alu instid0(VALU_DEP_2)
	v_mul_lo_u32 v11, v2, v8
	v_mul_hi_u32 v12, v2, v8
	v_mul_hi_u32 v13, v3, v9
	v_mul_lo_u32 v9, v3, v9
	v_mul_hi_u32 v14, v3, v8
	v_mul_lo_u32 v8, v3, v8
	v_add_co_u32 v10, vcc_lo, v10, v11
	v_add_co_ci_u32_e32 v11, vcc_lo, 0, v12, vcc_lo
	s_delay_alu instid0(VALU_DEP_2) | instskip(NEXT) | instid1(VALU_DEP_2)
	v_add_co_u32 v9, vcc_lo, v10, v9
	v_add_co_ci_u32_e32 v9, vcc_lo, v11, v13, vcc_lo
	v_add_co_ci_u32_e32 v10, vcc_lo, 0, v14, vcc_lo
	v_ashrrev_i32_e32 v13, 31, v7
	s_delay_alu instid0(VALU_DEP_3) | instskip(NEXT) | instid1(VALU_DEP_3)
	v_add_co_u32 v8, vcc_lo, v9, v8
	v_add_co_ci_u32_e32 v9, vcc_lo, 0, v10, vcc_lo
	s_delay_alu instid0(VALU_DEP_2) | instskip(NEXT) | instid1(VALU_DEP_2)
	v_add_co_u32 v2, vcc_lo, v2, v8
	v_add_co_ci_u32_e32 v3, vcc_lo, v3, v9, vcc_lo
	s_delay_alu instid0(VALU_DEP_2) | instskip(SKIP_1) | instid1(VALU_DEP_3)
	v_mul_hi_u32 v8, s2, v2
	v_mul_lo_u32 v10, s5, v2
	v_mul_lo_u32 v9, s2, v3
	s_delay_alu instid0(VALU_DEP_1) | instskip(SKIP_1) | instid1(VALU_DEP_2)
	v_add_nc_u32_e32 v8, v8, v9
	v_mul_lo_u32 v9, s2, v2
	v_add_nc_u32_e32 v8, v8, v10
	s_delay_alu instid0(VALU_DEP_2) | instskip(NEXT) | instid1(VALU_DEP_2)
	v_mul_hi_u32 v10, v2, v9
	v_mul_lo_u32 v11, v2, v8
	v_mul_hi_u32 v12, v2, v8
	v_mul_hi_u32 v14, v3, v9
	v_mul_lo_u32 v9, v3, v9
	v_mul_hi_u32 v15, v3, v8
	v_mul_lo_u32 v8, v3, v8
	v_add_co_u32 v10, vcc_lo, v10, v11
	v_add_co_ci_u32_e32 v11, vcc_lo, 0, v12, vcc_lo
	s_delay_alu instid0(VALU_DEP_2) | instskip(NEXT) | instid1(VALU_DEP_2)
	v_add_co_u32 v9, vcc_lo, v10, v9
	v_add_co_ci_u32_e32 v9, vcc_lo, v11, v14, vcc_lo
	v_add_co_ci_u32_e32 v10, vcc_lo, 0, v15, vcc_lo
	v_add_co_u32 v11, vcc_lo, v6, v13
	v_add_co_ci_u32_e32 v12, vcc_lo, v7, v13, vcc_lo
	s_delay_alu instid0(VALU_DEP_4) | instskip(NEXT) | instid1(VALU_DEP_4)
	v_add_co_u32 v8, vcc_lo, v9, v8
	v_add_co_ci_u32_e32 v9, vcc_lo, 0, v10, vcc_lo
	s_delay_alu instid0(VALU_DEP_4) | instskip(NEXT) | instid1(VALU_DEP_3)
	v_xor_b32_e32 v14, v11, v13
	v_add_co_u32 v10, vcc_lo, v2, v8
	s_delay_alu instid0(VALU_DEP_3) | instskip(SKIP_1) | instid1(VALU_DEP_3)
	v_add_co_ci_u32_e32 v15, vcc_lo, v3, v9, vcc_lo
	v_xor_b32_e32 v12, v12, v13
	v_mul_hi_u32 v16, v14, v10
	s_delay_alu instid0(VALU_DEP_3) | instskip(NEXT) | instid1(VALU_DEP_3)
	v_mad_u64_u32 v[2:3], null, v14, v15, 0
	v_mad_u64_u32 v[8:9], null, v12, v10, 0
	;; [unrolled: 1-line block ×3, first 2 shown]
	s_delay_alu instid0(VALU_DEP_3) | instskip(NEXT) | instid1(VALU_DEP_4)
	v_add_co_u32 v2, vcc_lo, v16, v2
	v_add_co_ci_u32_e32 v3, vcc_lo, 0, v3, vcc_lo
	s_delay_alu instid0(VALU_DEP_2) | instskip(NEXT) | instid1(VALU_DEP_2)
	v_add_co_u32 v2, vcc_lo, v2, v8
	v_add_co_ci_u32_e32 v2, vcc_lo, v3, v9, vcc_lo
	v_add_co_ci_u32_e32 v3, vcc_lo, 0, v11, vcc_lo
	s_delay_alu instid0(VALU_DEP_2) | instskip(NEXT) | instid1(VALU_DEP_2)
	v_add_co_u32 v8, vcc_lo, v2, v10
	v_add_co_ci_u32_e32 v9, vcc_lo, 0, v3, vcc_lo
	s_delay_alu instid0(VALU_DEP_2) | instskip(SKIP_1) | instid1(VALU_DEP_3)
	v_mul_lo_u32 v10, s7, v8
	v_mad_u64_u32 v[2:3], null, s6, v8, 0
	v_mul_lo_u32 v11, s6, v9
	s_delay_alu instid0(VALU_DEP_2) | instskip(NEXT) | instid1(VALU_DEP_2)
	v_sub_co_u32 v2, vcc_lo, v14, v2
	v_add3_u32 v3, v3, v11, v10
	s_delay_alu instid0(VALU_DEP_1) | instskip(NEXT) | instid1(VALU_DEP_1)
	v_sub_nc_u32_e32 v10, v12, v3
	v_subrev_co_ci_u32_e64 v10, s2, s7, v10, vcc_lo
	v_add_co_u32 v11, s2, v8, 2
	s_delay_alu instid0(VALU_DEP_1) | instskip(SKIP_3) | instid1(VALU_DEP_3)
	v_add_co_ci_u32_e64 v14, s2, 0, v9, s2
	v_sub_co_u32 v15, s2, v2, s6
	v_sub_co_ci_u32_e32 v3, vcc_lo, v12, v3, vcc_lo
	v_subrev_co_ci_u32_e64 v10, s2, 0, v10, s2
	v_cmp_le_u32_e32 vcc_lo, s6, v15
	s_delay_alu instid0(VALU_DEP_3) | instskip(SKIP_1) | instid1(VALU_DEP_4)
	v_cmp_eq_u32_e64 s2, s7, v3
	v_cndmask_b32_e64 v12, 0, -1, vcc_lo
	v_cmp_le_u32_e32 vcc_lo, s7, v10
	v_cndmask_b32_e64 v15, 0, -1, vcc_lo
	v_cmp_le_u32_e32 vcc_lo, s6, v2
	;; [unrolled: 2-line block ×3, first 2 shown]
	v_cndmask_b32_e64 v16, 0, -1, vcc_lo
	v_cmp_eq_u32_e32 vcc_lo, s7, v10
	s_delay_alu instid0(VALU_DEP_2) | instskip(SKIP_3) | instid1(VALU_DEP_3)
	v_cndmask_b32_e64 v2, v16, v2, s2
	v_cndmask_b32_e32 v10, v15, v12, vcc_lo
	v_add_co_u32 v12, vcc_lo, v8, 1
	v_add_co_ci_u32_e32 v15, vcc_lo, 0, v9, vcc_lo
	v_cmp_ne_u32_e32 vcc_lo, 0, v10
	s_delay_alu instid0(VALU_DEP_2) | instskip(SKIP_2) | instid1(VALU_DEP_3)
	v_dual_cndmask_b32 v3, v15, v14 :: v_dual_cndmask_b32 v10, v12, v11
	v_cmp_ne_u32_e32 vcc_lo, 0, v2
	v_xor_b32_e32 v11, s4, v13
	v_dual_cndmask_b32 v2, v9, v3 :: v_dual_cndmask_b32 v3, v8, v10
	s_delay_alu instid0(VALU_DEP_1) | instskip(NEXT) | instid1(VALU_DEP_2)
	v_xor_b32_e32 v8, v2, v11
	v_xor_b32_e32 v3, v3, v11
	s_delay_alu instid0(VALU_DEP_1) | instskip(NEXT) | instid1(VALU_DEP_3)
	v_sub_co_u32 v2, vcc_lo, v3, v11
	v_sub_co_ci_u32_e32 v3, vcc_lo, v8, v11, vcc_lo
.LBB4_7:
	s_and_not1_saveexec_b32 s2, s9
	s_cbranch_execz .LBB4_9
; %bb.8:
	v_cvt_f32_u32_e32 v2, s3
	s_sub_i32 s4, 0, s3
	s_delay_alu instid0(VALU_DEP_1) | instskip(SKIP_2) | instid1(VALU_DEP_1)
	v_rcp_iflag_f32_e32 v2, v2
	s_waitcnt_depctr 0xfff
	v_mul_f32_e32 v2, 0x4f7ffffe, v2
	v_cvt_u32_f32_e32 v2, v2
	s_delay_alu instid0(VALU_DEP_1) | instskip(NEXT) | instid1(VALU_DEP_1)
	v_mul_lo_u32 v3, s4, v2
	v_mul_hi_u32 v3, v2, v3
	s_delay_alu instid0(VALU_DEP_1) | instskip(NEXT) | instid1(VALU_DEP_1)
	v_add_nc_u32_e32 v2, v2, v3
	v_mul_hi_u32 v2, v6, v2
	s_delay_alu instid0(VALU_DEP_1) | instskip(SKIP_1) | instid1(VALU_DEP_2)
	v_mul_lo_u32 v3, v2, s3
	v_add_nc_u32_e32 v8, 1, v2
	v_sub_nc_u32_e32 v3, v6, v3
	s_delay_alu instid0(VALU_DEP_1) | instskip(SKIP_1) | instid1(VALU_DEP_2)
	v_subrev_nc_u32_e32 v9, s3, v3
	v_cmp_le_u32_e32 vcc_lo, s3, v3
	v_dual_cndmask_b32 v3, v3, v9 :: v_dual_cndmask_b32 v2, v2, v8
	s_delay_alu instid0(VALU_DEP_1) | instskip(NEXT) | instid1(VALU_DEP_2)
	v_cmp_le_u32_e32 vcc_lo, s3, v3
	v_dual_mov_b32 v3, 0 :: v_dual_add_nc_u32 v8, 1, v2
	s_delay_alu instid0(VALU_DEP_1)
	v_cndmask_b32_e32 v2, v2, v8, vcc_lo
.LBB4_9:
	s_or_b32 exec_lo, exec_lo, s2
	s_delay_alu instid0(VALU_DEP_1) | instskip(NEXT) | instid1(VALU_DEP_2)
	v_mul_lo_u32 v10, s8, v2
	v_mul_lo_u32 v11, s3, v3
	v_mad_u64_u32 v[8:9], null, s3, v2, 0
	s_delay_alu instid0(VALU_DEP_1) | instskip(NEXT) | instid1(VALU_DEP_2)
	v_add3_u32 v9, v9, v11, v10
	v_sub_co_u32 v8, vcc_lo, v6, v8
	v_mov_b32_e32 v6, 0
	s_delay_alu instid0(VALU_DEP_3) | instskip(NEXT) | instid1(VALU_DEP_1)
	v_sub_co_ci_u32_e32 v9, vcc_lo, v7, v9, vcc_lo
	v_or_b32_e32 v7, s23, v9
	s_delay_alu instid0(VALU_DEP_1) | instskip(SKIP_1) | instid1(SALU_CYCLE_1)
	v_cmp_ne_u64_e32 vcc_lo, 0, v[6:7]
                                        ; implicit-def: $vgpr6_vgpr7
	s_and_saveexec_b32 s2, vcc_lo
	s_xor_b32 s3, exec_lo, s2
	s_cbranch_execz .LBB4_11
; %bb.10:
	s_ashr_i32 s4, s23, 31
	s_delay_alu instid0(SALU_CYCLE_1) | instskip(SKIP_2) | instid1(SALU_CYCLE_1)
	s_add_u32 s6, s22, s4
	s_mov_b32 s5, s4
	s_addc_u32 s7, s23, s4
	s_xor_b64 s[6:7], s[6:7], s[4:5]
	s_delay_alu instid0(SALU_CYCLE_1) | instskip(SKIP_3) | instid1(VALU_DEP_1)
	v_cvt_f32_u32_e32 v6, s6
	v_cvt_f32_u32_e32 v7, s7
	s_sub_u32 s2, 0, s6
	s_subb_u32 s5, 0, s7
	v_fmamk_f32 v6, v7, 0x4f800000, v6
	s_delay_alu instid0(VALU_DEP_1) | instskip(SKIP_2) | instid1(VALU_DEP_1)
	v_rcp_f32_e32 v6, v6
	s_waitcnt_depctr 0xfff
	v_mul_f32_e32 v6, 0x5f7ffffc, v6
	v_mul_f32_e32 v7, 0x2f800000, v6
	s_delay_alu instid0(VALU_DEP_1) | instskip(NEXT) | instid1(VALU_DEP_1)
	v_trunc_f32_e32 v7, v7
	v_fmamk_f32 v6, v7, 0xcf800000, v6
	v_cvt_u32_f32_e32 v7, v7
	s_delay_alu instid0(VALU_DEP_2) | instskip(NEXT) | instid1(VALU_DEP_2)
	v_cvt_u32_f32_e32 v6, v6
	v_mul_lo_u32 v10, s2, v7
	s_delay_alu instid0(VALU_DEP_2) | instskip(SKIP_1) | instid1(VALU_DEP_2)
	v_mul_hi_u32 v11, s2, v6
	v_mul_lo_u32 v12, s5, v6
	v_add_nc_u32_e32 v10, v11, v10
	v_mul_lo_u32 v11, s2, v6
	s_delay_alu instid0(VALU_DEP_2) | instskip(NEXT) | instid1(VALU_DEP_2)
	v_add_nc_u32_e32 v10, v10, v12
	v_mul_hi_u32 v12, v6, v11
	s_delay_alu instid0(VALU_DEP_2)
	v_mul_lo_u32 v13, v6, v10
	v_mul_hi_u32 v14, v6, v10
	v_mul_hi_u32 v15, v7, v11
	v_mul_lo_u32 v11, v7, v11
	v_mul_hi_u32 v16, v7, v10
	v_mul_lo_u32 v10, v7, v10
	v_add_co_u32 v12, vcc_lo, v12, v13
	v_add_co_ci_u32_e32 v13, vcc_lo, 0, v14, vcc_lo
	s_delay_alu instid0(VALU_DEP_2) | instskip(NEXT) | instid1(VALU_DEP_2)
	v_add_co_u32 v11, vcc_lo, v12, v11
	v_add_co_ci_u32_e32 v11, vcc_lo, v13, v15, vcc_lo
	v_add_co_ci_u32_e32 v12, vcc_lo, 0, v16, vcc_lo
	v_ashrrev_i32_e32 v15, 31, v9
	s_delay_alu instid0(VALU_DEP_3) | instskip(NEXT) | instid1(VALU_DEP_3)
	v_add_co_u32 v10, vcc_lo, v11, v10
	v_add_co_ci_u32_e32 v11, vcc_lo, 0, v12, vcc_lo
	s_delay_alu instid0(VALU_DEP_2) | instskip(NEXT) | instid1(VALU_DEP_2)
	v_add_co_u32 v6, vcc_lo, v6, v10
	v_add_co_ci_u32_e32 v7, vcc_lo, v7, v11, vcc_lo
	s_delay_alu instid0(VALU_DEP_2) | instskip(SKIP_1) | instid1(VALU_DEP_3)
	v_mul_hi_u32 v10, s2, v6
	v_mul_lo_u32 v12, s5, v6
	v_mul_lo_u32 v11, s2, v7
	s_delay_alu instid0(VALU_DEP_1) | instskip(SKIP_1) | instid1(VALU_DEP_2)
	v_add_nc_u32_e32 v10, v10, v11
	v_mul_lo_u32 v11, s2, v6
	v_add_nc_u32_e32 v10, v10, v12
	s_delay_alu instid0(VALU_DEP_2) | instskip(NEXT) | instid1(VALU_DEP_2)
	v_mul_hi_u32 v12, v6, v11
	v_mul_lo_u32 v13, v6, v10
	v_mul_hi_u32 v14, v6, v10
	v_mul_hi_u32 v16, v7, v11
	v_mul_lo_u32 v11, v7, v11
	v_mul_hi_u32 v17, v7, v10
	v_mul_lo_u32 v10, v7, v10
	v_add_co_u32 v12, vcc_lo, v12, v13
	v_add_co_ci_u32_e32 v13, vcc_lo, 0, v14, vcc_lo
	s_delay_alu instid0(VALU_DEP_2) | instskip(NEXT) | instid1(VALU_DEP_2)
	v_add_co_u32 v11, vcc_lo, v12, v11
	v_add_co_ci_u32_e32 v11, vcc_lo, v13, v16, vcc_lo
	v_add_co_ci_u32_e32 v12, vcc_lo, 0, v17, vcc_lo
	v_add_co_u32 v13, vcc_lo, v8, v15
	v_add_co_ci_u32_e32 v14, vcc_lo, v9, v15, vcc_lo
	s_delay_alu instid0(VALU_DEP_4) | instskip(NEXT) | instid1(VALU_DEP_4)
	v_add_co_u32 v10, vcc_lo, v11, v10
	v_add_co_ci_u32_e32 v11, vcc_lo, 0, v12, vcc_lo
	s_delay_alu instid0(VALU_DEP_4) | instskip(NEXT) | instid1(VALU_DEP_3)
	v_xor_b32_e32 v16, v13, v15
	v_add_co_u32 v12, vcc_lo, v6, v10
	s_delay_alu instid0(VALU_DEP_3) | instskip(SKIP_1) | instid1(VALU_DEP_3)
	v_add_co_ci_u32_e32 v17, vcc_lo, v7, v11, vcc_lo
	v_xor_b32_e32 v14, v14, v15
	v_mul_hi_u32 v18, v16, v12
	s_delay_alu instid0(VALU_DEP_3) | instskip(NEXT) | instid1(VALU_DEP_3)
	v_mad_u64_u32 v[6:7], null, v16, v17, 0
	v_mad_u64_u32 v[10:11], null, v14, v12, 0
	;; [unrolled: 1-line block ×3, first 2 shown]
	s_delay_alu instid0(VALU_DEP_3) | instskip(NEXT) | instid1(VALU_DEP_4)
	v_add_co_u32 v6, vcc_lo, v18, v6
	v_add_co_ci_u32_e32 v7, vcc_lo, 0, v7, vcc_lo
	s_delay_alu instid0(VALU_DEP_2) | instskip(NEXT) | instid1(VALU_DEP_2)
	v_add_co_u32 v6, vcc_lo, v6, v10
	v_add_co_ci_u32_e32 v6, vcc_lo, v7, v11, vcc_lo
	v_add_co_ci_u32_e32 v7, vcc_lo, 0, v13, vcc_lo
	s_delay_alu instid0(VALU_DEP_2) | instskip(NEXT) | instid1(VALU_DEP_2)
	v_add_co_u32 v10, vcc_lo, v6, v12
	v_add_co_ci_u32_e32 v11, vcc_lo, 0, v7, vcc_lo
	s_delay_alu instid0(VALU_DEP_2) | instskip(SKIP_1) | instid1(VALU_DEP_3)
	v_mul_lo_u32 v12, s7, v10
	v_mad_u64_u32 v[6:7], null, s6, v10, 0
	v_mul_lo_u32 v13, s6, v11
	s_delay_alu instid0(VALU_DEP_2) | instskip(NEXT) | instid1(VALU_DEP_2)
	v_sub_co_u32 v6, vcc_lo, v16, v6
	v_add3_u32 v7, v7, v13, v12
	s_delay_alu instid0(VALU_DEP_1) | instskip(NEXT) | instid1(VALU_DEP_1)
	v_sub_nc_u32_e32 v12, v14, v7
	v_subrev_co_ci_u32_e64 v12, s2, s7, v12, vcc_lo
	v_add_co_u32 v13, s2, v10, 2
	s_delay_alu instid0(VALU_DEP_1) | instskip(SKIP_3) | instid1(VALU_DEP_3)
	v_add_co_ci_u32_e64 v16, s2, 0, v11, s2
	v_sub_co_u32 v17, s2, v6, s6
	v_sub_co_ci_u32_e32 v7, vcc_lo, v14, v7, vcc_lo
	v_subrev_co_ci_u32_e64 v12, s2, 0, v12, s2
	v_cmp_le_u32_e32 vcc_lo, s6, v17
	s_delay_alu instid0(VALU_DEP_3) | instskip(SKIP_1) | instid1(VALU_DEP_4)
	v_cmp_eq_u32_e64 s2, s7, v7
	v_cndmask_b32_e64 v14, 0, -1, vcc_lo
	v_cmp_le_u32_e32 vcc_lo, s7, v12
	v_cndmask_b32_e64 v17, 0, -1, vcc_lo
	v_cmp_le_u32_e32 vcc_lo, s6, v6
	;; [unrolled: 2-line block ×3, first 2 shown]
	v_cndmask_b32_e64 v18, 0, -1, vcc_lo
	v_cmp_eq_u32_e32 vcc_lo, s7, v12
	s_delay_alu instid0(VALU_DEP_2) | instskip(SKIP_3) | instid1(VALU_DEP_3)
	v_cndmask_b32_e64 v6, v18, v6, s2
	v_cndmask_b32_e32 v12, v17, v14, vcc_lo
	v_add_co_u32 v14, vcc_lo, v10, 1
	v_add_co_ci_u32_e32 v17, vcc_lo, 0, v11, vcc_lo
	v_cmp_ne_u32_e32 vcc_lo, 0, v12
	s_delay_alu instid0(VALU_DEP_2) | instskip(SKIP_2) | instid1(VALU_DEP_3)
	v_dual_cndmask_b32 v7, v17, v16 :: v_dual_cndmask_b32 v12, v14, v13
	v_cmp_ne_u32_e32 vcc_lo, 0, v6
	v_xor_b32_e32 v13, s4, v15
	v_dual_cndmask_b32 v6, v11, v7 :: v_dual_cndmask_b32 v7, v10, v12
	s_delay_alu instid0(VALU_DEP_1) | instskip(NEXT) | instid1(VALU_DEP_2)
	v_xor_b32_e32 v10, v6, v13
	v_xor_b32_e32 v7, v7, v13
	s_delay_alu instid0(VALU_DEP_1) | instskip(NEXT) | instid1(VALU_DEP_3)
	v_sub_co_u32 v6, vcc_lo, v7, v13
	v_sub_co_ci_u32_e32 v7, vcc_lo, v10, v13, vcc_lo
.LBB4_11:
	s_and_not1_saveexec_b32 s2, s3
	s_cbranch_execz .LBB4_13
; %bb.12:
	v_cvt_f32_u32_e32 v6, s22
	s_sub_i32 s3, 0, s22
	s_delay_alu instid0(VALU_DEP_1) | instskip(SKIP_2) | instid1(VALU_DEP_1)
	v_rcp_iflag_f32_e32 v6, v6
	s_waitcnt_depctr 0xfff
	v_mul_f32_e32 v6, 0x4f7ffffe, v6
	v_cvt_u32_f32_e32 v6, v6
	s_delay_alu instid0(VALU_DEP_1) | instskip(NEXT) | instid1(VALU_DEP_1)
	v_mul_lo_u32 v7, s3, v6
	v_mul_hi_u32 v7, v6, v7
	s_delay_alu instid0(VALU_DEP_1) | instskip(NEXT) | instid1(VALU_DEP_1)
	v_add_nc_u32_e32 v6, v6, v7
	v_mul_hi_u32 v6, v8, v6
	s_delay_alu instid0(VALU_DEP_1) | instskip(SKIP_1) | instid1(VALU_DEP_2)
	v_mul_lo_u32 v7, v6, s22
	v_add_nc_u32_e32 v10, 1, v6
	v_sub_nc_u32_e32 v7, v8, v7
	s_delay_alu instid0(VALU_DEP_1) | instskip(SKIP_1) | instid1(VALU_DEP_2)
	v_subrev_nc_u32_e32 v11, s22, v7
	v_cmp_le_u32_e32 vcc_lo, s22, v7
	v_dual_cndmask_b32 v7, v7, v11 :: v_dual_cndmask_b32 v6, v6, v10
	s_delay_alu instid0(VALU_DEP_1) | instskip(NEXT) | instid1(VALU_DEP_2)
	v_cmp_le_u32_e32 vcc_lo, s22, v7
	v_dual_mov_b32 v7, 0 :: v_dual_add_nc_u32 v10, 1, v6
	s_delay_alu instid0(VALU_DEP_1)
	v_cndmask_b32_e32 v6, v6, v10, vcc_lo
.LBB4_13:
	s_or_b32 exec_lo, exec_lo, s2
	s_load_b512 s[36:51], s[0:1], 0x40
	v_mov_b32_e32 v10, 0
                                        ; implicit-def: $vgpr12_vgpr13
	s_waitcnt lgkmcnt(0)
	s_mul_i32 s2, s42, s41
	s_mul_hi_u32 s4, s42, s40
	s_mul_i32 s5, s43, s40
	s_mul_i32 s3, s42, s40
	s_add_i32 s8, s4, s2
	s_mul_i32 s2, s3, s45
	s_mul_hi_u32 s4, s3, s44
	s_add_i32 s8, s8, s5
	s_add_i32 s2, s4, s2
	s_mul_i32 s4, s8, s44
	s_mul_i32 s10, s3, s44
	s_add_i32 s9, s2, s4
	s_mov_b32 s2, exec_lo
	v_or_b32_e32 v11, s9, v5
	s_delay_alu instid0(VALU_DEP_1)
	v_cmpx_ne_u64_e32 0, v[10:11]
	s_xor_b32 s11, exec_lo, s2
	s_cbranch_execz .LBB4_15
; %bb.14:
	s_ashr_i32 s4, s9, 31
	s_delay_alu instid0(SALU_CYCLE_1) | instskip(SKIP_2) | instid1(SALU_CYCLE_1)
	s_add_u32 s6, s10, s4
	s_mov_b32 s5, s4
	s_addc_u32 s7, s9, s4
	s_xor_b64 s[6:7], s[6:7], s[4:5]
	s_delay_alu instid0(SALU_CYCLE_1) | instskip(SKIP_3) | instid1(VALU_DEP_1)
	v_cvt_f32_u32_e32 v10, s6
	v_cvt_f32_u32_e32 v11, s7
	s_sub_u32 s2, 0, s6
	s_subb_u32 s5, 0, s7
	v_fmamk_f32 v10, v11, 0x4f800000, v10
	s_delay_alu instid0(VALU_DEP_1) | instskip(SKIP_2) | instid1(VALU_DEP_1)
	v_rcp_f32_e32 v10, v10
	s_waitcnt_depctr 0xfff
	v_mul_f32_e32 v10, 0x5f7ffffc, v10
	v_mul_f32_e32 v11, 0x2f800000, v10
	s_delay_alu instid0(VALU_DEP_1) | instskip(NEXT) | instid1(VALU_DEP_1)
	v_trunc_f32_e32 v11, v11
	v_fmamk_f32 v10, v11, 0xcf800000, v10
	v_cvt_u32_f32_e32 v11, v11
	s_delay_alu instid0(VALU_DEP_2) | instskip(NEXT) | instid1(VALU_DEP_2)
	v_cvt_u32_f32_e32 v10, v10
	v_mul_lo_u32 v12, s2, v11
	s_delay_alu instid0(VALU_DEP_2) | instskip(SKIP_1) | instid1(VALU_DEP_2)
	v_mul_hi_u32 v13, s2, v10
	v_mul_lo_u32 v14, s5, v10
	v_add_nc_u32_e32 v12, v13, v12
	v_mul_lo_u32 v13, s2, v10
	s_delay_alu instid0(VALU_DEP_2) | instskip(NEXT) | instid1(VALU_DEP_2)
	v_add_nc_u32_e32 v12, v12, v14
	v_mul_hi_u32 v14, v10, v13
	s_delay_alu instid0(VALU_DEP_2)
	v_mul_lo_u32 v15, v10, v12
	v_mul_hi_u32 v16, v10, v12
	v_mul_hi_u32 v17, v11, v13
	v_mul_lo_u32 v13, v11, v13
	v_mul_hi_u32 v18, v11, v12
	v_mul_lo_u32 v12, v11, v12
	v_add_co_u32 v14, vcc_lo, v14, v15
	v_add_co_ci_u32_e32 v15, vcc_lo, 0, v16, vcc_lo
	s_delay_alu instid0(VALU_DEP_2) | instskip(NEXT) | instid1(VALU_DEP_2)
	v_add_co_u32 v13, vcc_lo, v14, v13
	v_add_co_ci_u32_e32 v13, vcc_lo, v15, v17, vcc_lo
	v_add_co_ci_u32_e32 v14, vcc_lo, 0, v18, vcc_lo
	s_delay_alu instid0(VALU_DEP_2) | instskip(NEXT) | instid1(VALU_DEP_2)
	v_add_co_u32 v12, vcc_lo, v13, v12
	v_add_co_ci_u32_e32 v13, vcc_lo, 0, v14, vcc_lo
	s_delay_alu instid0(VALU_DEP_2) | instskip(NEXT) | instid1(VALU_DEP_2)
	v_add_co_u32 v10, vcc_lo, v10, v12
	v_add_co_ci_u32_e32 v11, vcc_lo, v11, v13, vcc_lo
	s_delay_alu instid0(VALU_DEP_2) | instskip(SKIP_1) | instid1(VALU_DEP_3)
	v_mul_hi_u32 v12, s2, v10
	v_mul_lo_u32 v14, s5, v10
	v_mul_lo_u32 v13, s2, v11
	s_delay_alu instid0(VALU_DEP_1) | instskip(SKIP_1) | instid1(VALU_DEP_2)
	v_add_nc_u32_e32 v12, v12, v13
	v_mul_lo_u32 v13, s2, v10
	v_add_nc_u32_e32 v12, v12, v14
	s_delay_alu instid0(VALU_DEP_2) | instskip(NEXT) | instid1(VALU_DEP_2)
	v_mul_hi_u32 v14, v10, v13
	v_mul_lo_u32 v15, v10, v12
	v_mul_hi_u32 v16, v10, v12
	v_mul_hi_u32 v17, v11, v13
	v_mul_lo_u32 v13, v11, v13
	v_mul_hi_u32 v18, v11, v12
	v_mul_lo_u32 v12, v11, v12
	v_add_co_u32 v14, vcc_lo, v14, v15
	v_add_co_ci_u32_e32 v15, vcc_lo, 0, v16, vcc_lo
	s_delay_alu instid0(VALU_DEP_2) | instskip(NEXT) | instid1(VALU_DEP_2)
	v_add_co_u32 v13, vcc_lo, v14, v13
	v_add_co_ci_u32_e32 v13, vcc_lo, v15, v17, vcc_lo
	v_add_co_ci_u32_e32 v14, vcc_lo, 0, v18, vcc_lo
	s_delay_alu instid0(VALU_DEP_2) | instskip(NEXT) | instid1(VALU_DEP_2)
	v_add_co_u32 v12, vcc_lo, v13, v12
	v_add_co_ci_u32_e32 v13, vcc_lo, 0, v14, vcc_lo
	s_delay_alu instid0(VALU_DEP_2) | instskip(NEXT) | instid1(VALU_DEP_2)
	v_add_co_u32 v14, vcc_lo, v10, v12
	v_add_co_ci_u32_e32 v16, vcc_lo, v11, v13, vcc_lo
	s_delay_alu instid0(VALU_DEP_2) | instskip(SKIP_1) | instid1(VALU_DEP_3)
	v_mul_hi_u32 v17, v4, v14
	v_mad_u64_u32 v[12:13], null, v5, v14, 0
	v_mad_u64_u32 v[10:11], null, v4, v16, 0
	;; [unrolled: 1-line block ×3, first 2 shown]
	s_delay_alu instid0(VALU_DEP_2) | instskip(NEXT) | instid1(VALU_DEP_3)
	v_add_co_u32 v10, vcc_lo, v17, v10
	v_add_co_ci_u32_e32 v11, vcc_lo, 0, v11, vcc_lo
	s_delay_alu instid0(VALU_DEP_2) | instskip(NEXT) | instid1(VALU_DEP_2)
	v_add_co_u32 v10, vcc_lo, v10, v12
	v_add_co_ci_u32_e32 v10, vcc_lo, v11, v13, vcc_lo
	v_add_co_ci_u32_e32 v11, vcc_lo, 0, v15, vcc_lo
	s_delay_alu instid0(VALU_DEP_2) | instskip(NEXT) | instid1(VALU_DEP_2)
	v_add_co_u32 v12, vcc_lo, v10, v14
	v_add_co_ci_u32_e32 v13, vcc_lo, 0, v11, vcc_lo
	s_delay_alu instid0(VALU_DEP_2) | instskip(SKIP_1) | instid1(VALU_DEP_3)
	v_mul_lo_u32 v14, s7, v12
	v_mad_u64_u32 v[10:11], null, s6, v12, 0
	v_mul_lo_u32 v15, s6, v13
	s_delay_alu instid0(VALU_DEP_2) | instskip(NEXT) | instid1(VALU_DEP_2)
	v_sub_co_u32 v10, vcc_lo, v4, v10
	v_add3_u32 v11, v11, v15, v14
	s_delay_alu instid0(VALU_DEP_1) | instskip(NEXT) | instid1(VALU_DEP_1)
	v_sub_nc_u32_e32 v14, v5, v11
	v_subrev_co_ci_u32_e64 v14, s2, s7, v14, vcc_lo
	v_add_co_u32 v15, s2, v12, 2
	s_delay_alu instid0(VALU_DEP_1) | instskip(SKIP_3) | instid1(VALU_DEP_3)
	v_add_co_ci_u32_e64 v16, s2, 0, v13, s2
	v_sub_co_u32 v17, s2, v10, s6
	v_sub_co_ci_u32_e32 v11, vcc_lo, v5, v11, vcc_lo
	v_subrev_co_ci_u32_e64 v14, s2, 0, v14, s2
	v_cmp_le_u32_e32 vcc_lo, s6, v17
	s_delay_alu instid0(VALU_DEP_3) | instskip(SKIP_1) | instid1(VALU_DEP_4)
	v_cmp_eq_u32_e64 s2, s7, v11
	v_cndmask_b32_e64 v17, 0, -1, vcc_lo
	v_cmp_le_u32_e32 vcc_lo, s7, v14
	v_cndmask_b32_e64 v18, 0, -1, vcc_lo
	v_cmp_le_u32_e32 vcc_lo, s6, v10
	;; [unrolled: 2-line block ×3, first 2 shown]
	v_cndmask_b32_e64 v19, 0, -1, vcc_lo
	v_cmp_eq_u32_e32 vcc_lo, s7, v14
	s_delay_alu instid0(VALU_DEP_2) | instskip(SKIP_3) | instid1(VALU_DEP_3)
	v_cndmask_b32_e64 v10, v19, v10, s2
	v_cndmask_b32_e32 v14, v18, v17, vcc_lo
	v_add_co_u32 v17, vcc_lo, v12, 1
	v_add_co_ci_u32_e32 v18, vcc_lo, 0, v13, vcc_lo
	v_cmp_ne_u32_e32 vcc_lo, 0, v14
	s_delay_alu instid0(VALU_DEP_2) | instskip(SKIP_1) | instid1(VALU_DEP_2)
	v_dual_cndmask_b32 v11, v18, v16 :: v_dual_cndmask_b32 v14, v17, v15
	v_cmp_ne_u32_e32 vcc_lo, 0, v10
	v_dual_cndmask_b32 v10, v13, v11 :: v_dual_cndmask_b32 v11, v12, v14
	s_delay_alu instid0(VALU_DEP_1) | instskip(NEXT) | instid1(VALU_DEP_2)
	v_xor_b32_e32 v10, s4, v10
	v_xor_b32_e32 v11, s4, v11
	s_delay_alu instid0(VALU_DEP_1) | instskip(NEXT) | instid1(VALU_DEP_3)
	v_sub_co_u32 v12, vcc_lo, v11, s4
	v_subrev_co_ci_u32_e32 v13, vcc_lo, s4, v10, vcc_lo
.LBB4_15:
	s_and_not1_saveexec_b32 s2, s11
	s_cbranch_execz .LBB4_17
; %bb.16:
	v_cvt_f32_u32_e32 v10, s10
	s_sub_i32 s4, 0, s10
	s_delay_alu instid0(VALU_DEP_1) | instskip(SKIP_2) | instid1(VALU_DEP_1)
	v_rcp_iflag_f32_e32 v10, v10
	s_waitcnt_depctr 0xfff
	v_mul_f32_e32 v10, 0x4f7ffffe, v10
	v_cvt_u32_f32_e32 v10, v10
	s_delay_alu instid0(VALU_DEP_1) | instskip(NEXT) | instid1(VALU_DEP_1)
	v_mul_lo_u32 v11, s4, v10
	v_mul_hi_u32 v11, v10, v11
	s_delay_alu instid0(VALU_DEP_1) | instskip(NEXT) | instid1(VALU_DEP_1)
	v_add_nc_u32_e32 v10, v10, v11
	v_mul_hi_u32 v10, v4, v10
	s_delay_alu instid0(VALU_DEP_1) | instskip(SKIP_1) | instid1(VALU_DEP_2)
	v_mul_lo_u32 v11, v10, s10
	v_add_nc_u32_e32 v12, 1, v10
	v_sub_nc_u32_e32 v11, v4, v11
	s_delay_alu instid0(VALU_DEP_1) | instskip(SKIP_1) | instid1(VALU_DEP_2)
	v_subrev_nc_u32_e32 v13, s10, v11
	v_cmp_le_u32_e32 vcc_lo, s10, v11
	v_cndmask_b32_e32 v11, v11, v13, vcc_lo
	v_dual_mov_b32 v13, 0 :: v_dual_cndmask_b32 v10, v10, v12
	s_delay_alu instid0(VALU_DEP_2) | instskip(NEXT) | instid1(VALU_DEP_2)
	v_cmp_le_u32_e32 vcc_lo, s10, v11
	v_add_nc_u32_e32 v12, 1, v10
	s_delay_alu instid0(VALU_DEP_1)
	v_cndmask_b32_e32 v12, v10, v12, vcc_lo
.LBB4_17:
	s_or_b32 exec_lo, exec_lo, s2
	s_delay_alu instid0(VALU_DEP_1) | instskip(SKIP_3) | instid1(VALU_DEP_1)
	v_mul_lo_u32 v14, s9, v12
	v_mul_lo_u32 v15, s10, v13
	v_mad_u64_u32 v[10:11], null, s10, v12, 0
	s_mov_b32 s2, exec_lo
	v_add3_u32 v11, v11, v15, v14
	s_delay_alu instid0(VALU_DEP_2) | instskip(SKIP_1) | instid1(VALU_DEP_3)
	v_sub_co_u32 v4, vcc_lo, v4, v10
	v_mov_b32_e32 v10, 0
                                        ; implicit-def: $vgpr14_vgpr15
	v_sub_co_ci_u32_e32 v5, vcc_lo, v5, v11, vcc_lo
	s_delay_alu instid0(VALU_DEP_1) | instskip(NEXT) | instid1(VALU_DEP_1)
	v_or_b32_e32 v11, s8, v5
	v_cmpx_ne_u64_e32 0, v[10:11]
	s_xor_b32 s9, exec_lo, s2
	s_cbranch_execz .LBB4_19
; %bb.18:
	s_ashr_i32 s4, s8, 31
	s_delay_alu instid0(SALU_CYCLE_1) | instskip(SKIP_2) | instid1(SALU_CYCLE_1)
	s_add_u32 s6, s3, s4
	s_mov_b32 s5, s4
	s_addc_u32 s7, s8, s4
	s_xor_b64 s[6:7], s[6:7], s[4:5]
	s_delay_alu instid0(SALU_CYCLE_1) | instskip(SKIP_3) | instid1(VALU_DEP_1)
	v_cvt_f32_u32_e32 v10, s6
	v_cvt_f32_u32_e32 v11, s7
	s_sub_u32 s2, 0, s6
	s_subb_u32 s5, 0, s7
	v_fmamk_f32 v10, v11, 0x4f800000, v10
	s_delay_alu instid0(VALU_DEP_1) | instskip(SKIP_2) | instid1(VALU_DEP_1)
	v_rcp_f32_e32 v10, v10
	s_waitcnt_depctr 0xfff
	v_mul_f32_e32 v10, 0x5f7ffffc, v10
	v_mul_f32_e32 v11, 0x2f800000, v10
	s_delay_alu instid0(VALU_DEP_1) | instskip(NEXT) | instid1(VALU_DEP_1)
	v_trunc_f32_e32 v11, v11
	v_fmamk_f32 v10, v11, 0xcf800000, v10
	v_cvt_u32_f32_e32 v11, v11
	s_delay_alu instid0(VALU_DEP_2) | instskip(NEXT) | instid1(VALU_DEP_2)
	v_cvt_u32_f32_e32 v10, v10
	v_mul_lo_u32 v14, s2, v11
	s_delay_alu instid0(VALU_DEP_2) | instskip(SKIP_1) | instid1(VALU_DEP_2)
	v_mul_hi_u32 v15, s2, v10
	v_mul_lo_u32 v16, s5, v10
	v_add_nc_u32_e32 v14, v15, v14
	v_mul_lo_u32 v15, s2, v10
	s_delay_alu instid0(VALU_DEP_2) | instskip(NEXT) | instid1(VALU_DEP_2)
	v_add_nc_u32_e32 v14, v14, v16
	v_mul_hi_u32 v16, v10, v15
	s_delay_alu instid0(VALU_DEP_2)
	v_mul_lo_u32 v17, v10, v14
	v_mul_hi_u32 v18, v10, v14
	v_mul_hi_u32 v19, v11, v15
	v_mul_lo_u32 v15, v11, v15
	v_mul_hi_u32 v20, v11, v14
	v_mul_lo_u32 v14, v11, v14
	v_add_co_u32 v16, vcc_lo, v16, v17
	v_add_co_ci_u32_e32 v17, vcc_lo, 0, v18, vcc_lo
	s_delay_alu instid0(VALU_DEP_2) | instskip(NEXT) | instid1(VALU_DEP_2)
	v_add_co_u32 v15, vcc_lo, v16, v15
	v_add_co_ci_u32_e32 v15, vcc_lo, v17, v19, vcc_lo
	v_add_co_ci_u32_e32 v16, vcc_lo, 0, v20, vcc_lo
	v_ashrrev_i32_e32 v19, 31, v5
	s_delay_alu instid0(VALU_DEP_3) | instskip(NEXT) | instid1(VALU_DEP_3)
	v_add_co_u32 v14, vcc_lo, v15, v14
	v_add_co_ci_u32_e32 v15, vcc_lo, 0, v16, vcc_lo
	s_delay_alu instid0(VALU_DEP_2) | instskip(NEXT) | instid1(VALU_DEP_2)
	v_add_co_u32 v10, vcc_lo, v10, v14
	v_add_co_ci_u32_e32 v11, vcc_lo, v11, v15, vcc_lo
	s_delay_alu instid0(VALU_DEP_2) | instskip(SKIP_1) | instid1(VALU_DEP_3)
	v_mul_hi_u32 v14, s2, v10
	v_mul_lo_u32 v16, s5, v10
	v_mul_lo_u32 v15, s2, v11
	s_delay_alu instid0(VALU_DEP_1) | instskip(SKIP_1) | instid1(VALU_DEP_2)
	v_add_nc_u32_e32 v14, v14, v15
	v_mul_lo_u32 v15, s2, v10
	v_add_nc_u32_e32 v14, v14, v16
	s_delay_alu instid0(VALU_DEP_2) | instskip(NEXT) | instid1(VALU_DEP_2)
	v_mul_hi_u32 v16, v10, v15
	v_mul_lo_u32 v17, v10, v14
	v_mul_hi_u32 v18, v10, v14
	v_mul_hi_u32 v20, v11, v15
	v_mul_lo_u32 v15, v11, v15
	v_mul_hi_u32 v21, v11, v14
	v_mul_lo_u32 v14, v11, v14
	v_add_co_u32 v16, vcc_lo, v16, v17
	v_add_co_ci_u32_e32 v17, vcc_lo, 0, v18, vcc_lo
	s_delay_alu instid0(VALU_DEP_2) | instskip(NEXT) | instid1(VALU_DEP_2)
	v_add_co_u32 v15, vcc_lo, v16, v15
	v_add_co_ci_u32_e32 v15, vcc_lo, v17, v20, vcc_lo
	v_add_co_ci_u32_e32 v16, vcc_lo, 0, v21, vcc_lo
	v_add_co_u32 v17, vcc_lo, v4, v19
	v_add_co_ci_u32_e32 v18, vcc_lo, v5, v19, vcc_lo
	s_delay_alu instid0(VALU_DEP_4) | instskip(NEXT) | instid1(VALU_DEP_4)
	v_add_co_u32 v14, vcc_lo, v15, v14
	v_add_co_ci_u32_e32 v15, vcc_lo, 0, v16, vcc_lo
	s_delay_alu instid0(VALU_DEP_4) | instskip(NEXT) | instid1(VALU_DEP_3)
	v_xor_b32_e32 v20, v17, v19
	v_add_co_u32 v16, vcc_lo, v10, v14
	s_delay_alu instid0(VALU_DEP_3) | instskip(SKIP_1) | instid1(VALU_DEP_3)
	v_add_co_ci_u32_e32 v21, vcc_lo, v11, v15, vcc_lo
	v_xor_b32_e32 v18, v18, v19
	v_mul_hi_u32 v22, v20, v16
	s_delay_alu instid0(VALU_DEP_3) | instskip(NEXT) | instid1(VALU_DEP_3)
	v_mad_u64_u32 v[10:11], null, v20, v21, 0
	v_mad_u64_u32 v[14:15], null, v18, v16, 0
	;; [unrolled: 1-line block ×3, first 2 shown]
	s_delay_alu instid0(VALU_DEP_3) | instskip(NEXT) | instid1(VALU_DEP_4)
	v_add_co_u32 v10, vcc_lo, v22, v10
	v_add_co_ci_u32_e32 v11, vcc_lo, 0, v11, vcc_lo
	s_delay_alu instid0(VALU_DEP_2) | instskip(NEXT) | instid1(VALU_DEP_2)
	v_add_co_u32 v10, vcc_lo, v10, v14
	v_add_co_ci_u32_e32 v10, vcc_lo, v11, v15, vcc_lo
	v_add_co_ci_u32_e32 v11, vcc_lo, 0, v17, vcc_lo
	s_delay_alu instid0(VALU_DEP_2) | instskip(NEXT) | instid1(VALU_DEP_2)
	v_add_co_u32 v14, vcc_lo, v10, v16
	v_add_co_ci_u32_e32 v15, vcc_lo, 0, v11, vcc_lo
	s_delay_alu instid0(VALU_DEP_2) | instskip(SKIP_1) | instid1(VALU_DEP_3)
	v_mul_lo_u32 v16, s7, v14
	v_mad_u64_u32 v[10:11], null, s6, v14, 0
	v_mul_lo_u32 v17, s6, v15
	s_delay_alu instid0(VALU_DEP_2) | instskip(NEXT) | instid1(VALU_DEP_2)
	v_sub_co_u32 v10, vcc_lo, v20, v10
	v_add3_u32 v11, v11, v17, v16
	s_delay_alu instid0(VALU_DEP_1) | instskip(NEXT) | instid1(VALU_DEP_1)
	v_sub_nc_u32_e32 v16, v18, v11
	v_subrev_co_ci_u32_e64 v16, s2, s7, v16, vcc_lo
	v_add_co_u32 v17, s2, v14, 2
	s_delay_alu instid0(VALU_DEP_1) | instskip(SKIP_3) | instid1(VALU_DEP_3)
	v_add_co_ci_u32_e64 v20, s2, 0, v15, s2
	v_sub_co_u32 v21, s2, v10, s6
	v_sub_co_ci_u32_e32 v11, vcc_lo, v18, v11, vcc_lo
	v_subrev_co_ci_u32_e64 v16, s2, 0, v16, s2
	v_cmp_le_u32_e32 vcc_lo, s6, v21
	s_delay_alu instid0(VALU_DEP_3) | instskip(SKIP_1) | instid1(VALU_DEP_4)
	v_cmp_eq_u32_e64 s2, s7, v11
	v_cndmask_b32_e64 v18, 0, -1, vcc_lo
	v_cmp_le_u32_e32 vcc_lo, s7, v16
	v_cndmask_b32_e64 v21, 0, -1, vcc_lo
	v_cmp_le_u32_e32 vcc_lo, s6, v10
	;; [unrolled: 2-line block ×3, first 2 shown]
	v_cndmask_b32_e64 v22, 0, -1, vcc_lo
	v_cmp_eq_u32_e32 vcc_lo, s7, v16
	s_delay_alu instid0(VALU_DEP_2) | instskip(SKIP_3) | instid1(VALU_DEP_3)
	v_cndmask_b32_e64 v10, v22, v10, s2
	v_cndmask_b32_e32 v16, v21, v18, vcc_lo
	v_add_co_u32 v18, vcc_lo, v14, 1
	v_add_co_ci_u32_e32 v21, vcc_lo, 0, v15, vcc_lo
	v_cmp_ne_u32_e32 vcc_lo, 0, v16
	s_delay_alu instid0(VALU_DEP_2) | instskip(SKIP_2) | instid1(VALU_DEP_3)
	v_dual_cndmask_b32 v11, v21, v20 :: v_dual_cndmask_b32 v16, v18, v17
	v_cmp_ne_u32_e32 vcc_lo, 0, v10
	v_xor_b32_e32 v10, s4, v19
	v_dual_cndmask_b32 v14, v14, v16 :: v_dual_cndmask_b32 v11, v15, v11
	s_delay_alu instid0(VALU_DEP_1) | instskip(NEXT) | instid1(VALU_DEP_2)
	v_xor_b32_e32 v14, v14, v10
	v_xor_b32_e32 v11, v11, v10
	s_delay_alu instid0(VALU_DEP_2) | instskip(NEXT) | instid1(VALU_DEP_2)
	v_sub_co_u32 v14, vcc_lo, v14, v10
	v_sub_co_ci_u32_e32 v15, vcc_lo, v11, v10, vcc_lo
.LBB4_19:
	s_and_not1_saveexec_b32 s2, s9
	s_cbranch_execz .LBB4_21
; %bb.20:
	v_cvt_f32_u32_e32 v10, s3
	s_sub_i32 s4, 0, s3
	s_delay_alu instid0(VALU_DEP_1) | instskip(SKIP_2) | instid1(VALU_DEP_1)
	v_rcp_iflag_f32_e32 v10, v10
	s_waitcnt_depctr 0xfff
	v_mul_f32_e32 v10, 0x4f7ffffe, v10
	v_cvt_u32_f32_e32 v10, v10
	s_delay_alu instid0(VALU_DEP_1) | instskip(NEXT) | instid1(VALU_DEP_1)
	v_mul_lo_u32 v11, s4, v10
	v_mul_hi_u32 v11, v10, v11
	s_delay_alu instid0(VALU_DEP_1) | instskip(NEXT) | instid1(VALU_DEP_1)
	v_add_nc_u32_e32 v10, v10, v11
	v_mul_hi_u32 v10, v4, v10
	s_delay_alu instid0(VALU_DEP_1) | instskip(SKIP_1) | instid1(VALU_DEP_2)
	v_mul_lo_u32 v11, v10, s3
	v_add_nc_u32_e32 v14, 1, v10
	v_sub_nc_u32_e32 v11, v4, v11
	s_delay_alu instid0(VALU_DEP_1) | instskip(SKIP_1) | instid1(VALU_DEP_2)
	v_subrev_nc_u32_e32 v15, s3, v11
	v_cmp_le_u32_e32 vcc_lo, s3, v11
	v_cndmask_b32_e32 v11, v11, v15, vcc_lo
	v_dual_mov_b32 v15, 0 :: v_dual_cndmask_b32 v10, v10, v14
	s_delay_alu instid0(VALU_DEP_2) | instskip(NEXT) | instid1(VALU_DEP_2)
	v_cmp_le_u32_e32 vcc_lo, s3, v11
	v_add_nc_u32_e32 v14, 1, v10
	s_delay_alu instid0(VALU_DEP_1)
	v_cndmask_b32_e32 v14, v10, v14, vcc_lo
.LBB4_21:
	s_or_b32 exec_lo, exec_lo, s2
	s_delay_alu instid0(VALU_DEP_1) | instskip(SKIP_3) | instid1(VALU_DEP_1)
	v_mul_lo_u32 v16, s8, v14
	v_mul_lo_u32 v17, s3, v15
	v_mad_u64_u32 v[10:11], null, s3, v14, 0
	s_mov_b32 s2, exec_lo
	v_add3_u32 v11, v11, v17, v16
	s_delay_alu instid0(VALU_DEP_2) | instskip(SKIP_1) | instid1(VALU_DEP_3)
	v_sub_co_u32 v18, vcc_lo, v4, v10
	v_mov_b32_e32 v4, 0
                                        ; implicit-def: $vgpr16_vgpr17
	v_sub_co_ci_u32_e32 v19, vcc_lo, v5, v11, vcc_lo
	s_delay_alu instid0(VALU_DEP_1) | instskip(NEXT) | instid1(VALU_DEP_1)
	v_or_b32_e32 v5, s41, v19
	v_cmpx_ne_u64_e32 0, v[4:5]
	s_xor_b32 s3, exec_lo, s2
	s_cbranch_execz .LBB4_23
; %bb.22:
	s_ashr_i32 s4, s41, 31
	s_delay_alu instid0(SALU_CYCLE_1) | instskip(SKIP_2) | instid1(SALU_CYCLE_1)
	s_add_u32 s6, s40, s4
	s_mov_b32 s5, s4
	s_addc_u32 s7, s41, s4
	s_xor_b64 s[6:7], s[6:7], s[4:5]
	s_delay_alu instid0(SALU_CYCLE_1) | instskip(SKIP_3) | instid1(VALU_DEP_1)
	v_cvt_f32_u32_e32 v4, s6
	v_cvt_f32_u32_e32 v5, s7
	s_sub_u32 s2, 0, s6
	s_subb_u32 s5, 0, s7
	v_fmamk_f32 v4, v5, 0x4f800000, v4
	s_delay_alu instid0(VALU_DEP_1) | instskip(SKIP_2) | instid1(VALU_DEP_1)
	v_rcp_f32_e32 v4, v4
	s_waitcnt_depctr 0xfff
	v_mul_f32_e32 v4, 0x5f7ffffc, v4
	v_mul_f32_e32 v5, 0x2f800000, v4
	s_delay_alu instid0(VALU_DEP_1) | instskip(NEXT) | instid1(VALU_DEP_1)
	v_trunc_f32_e32 v5, v5
	v_fmamk_f32 v4, v5, 0xcf800000, v4
	v_cvt_u32_f32_e32 v5, v5
	s_delay_alu instid0(VALU_DEP_2) | instskip(NEXT) | instid1(VALU_DEP_2)
	v_cvt_u32_f32_e32 v4, v4
	v_mul_lo_u32 v10, s2, v5
	s_delay_alu instid0(VALU_DEP_2) | instskip(SKIP_1) | instid1(VALU_DEP_2)
	v_mul_hi_u32 v11, s2, v4
	v_mul_lo_u32 v16, s5, v4
	v_add_nc_u32_e32 v10, v11, v10
	v_mul_lo_u32 v11, s2, v4
	s_delay_alu instid0(VALU_DEP_2) | instskip(NEXT) | instid1(VALU_DEP_2)
	v_add_nc_u32_e32 v10, v10, v16
	v_mul_hi_u32 v16, v4, v11
	s_delay_alu instid0(VALU_DEP_2)
	v_mul_lo_u32 v17, v4, v10
	v_mul_hi_u32 v20, v4, v10
	v_mul_hi_u32 v21, v5, v11
	v_mul_lo_u32 v11, v5, v11
	v_mul_hi_u32 v22, v5, v10
	v_mul_lo_u32 v10, v5, v10
	v_add_co_u32 v16, vcc_lo, v16, v17
	v_add_co_ci_u32_e32 v17, vcc_lo, 0, v20, vcc_lo
	s_delay_alu instid0(VALU_DEP_2) | instskip(NEXT) | instid1(VALU_DEP_2)
	v_add_co_u32 v11, vcc_lo, v16, v11
	v_add_co_ci_u32_e32 v11, vcc_lo, v17, v21, vcc_lo
	v_add_co_ci_u32_e32 v16, vcc_lo, 0, v22, vcc_lo
	v_ashrrev_i32_e32 v21, 31, v19
	s_delay_alu instid0(VALU_DEP_3) | instskip(NEXT) | instid1(VALU_DEP_3)
	v_add_co_u32 v10, vcc_lo, v11, v10
	v_add_co_ci_u32_e32 v11, vcc_lo, 0, v16, vcc_lo
	s_delay_alu instid0(VALU_DEP_2) | instskip(NEXT) | instid1(VALU_DEP_2)
	v_add_co_u32 v4, vcc_lo, v4, v10
	v_add_co_ci_u32_e32 v5, vcc_lo, v5, v11, vcc_lo
	s_delay_alu instid0(VALU_DEP_2) | instskip(SKIP_1) | instid1(VALU_DEP_3)
	v_mul_hi_u32 v10, s2, v4
	v_mul_lo_u32 v16, s5, v4
	v_mul_lo_u32 v11, s2, v5
	s_delay_alu instid0(VALU_DEP_1) | instskip(SKIP_1) | instid1(VALU_DEP_2)
	v_add_nc_u32_e32 v10, v10, v11
	v_mul_lo_u32 v11, s2, v4
	v_add_nc_u32_e32 v10, v10, v16
	s_delay_alu instid0(VALU_DEP_2) | instskip(NEXT) | instid1(VALU_DEP_2)
	v_mul_hi_u32 v16, v4, v11
	v_mul_lo_u32 v17, v4, v10
	v_mul_hi_u32 v20, v4, v10
	v_mul_hi_u32 v22, v5, v11
	v_mul_lo_u32 v11, v5, v11
	v_mul_hi_u32 v23, v5, v10
	v_mul_lo_u32 v10, v5, v10
	v_add_co_u32 v16, vcc_lo, v16, v17
	v_add_co_ci_u32_e32 v17, vcc_lo, 0, v20, vcc_lo
	s_delay_alu instid0(VALU_DEP_2) | instskip(NEXT) | instid1(VALU_DEP_2)
	v_add_co_u32 v11, vcc_lo, v16, v11
	v_add_co_ci_u32_e32 v11, vcc_lo, v17, v22, vcc_lo
	v_add_co_ci_u32_e32 v16, vcc_lo, 0, v23, vcc_lo
	v_add_co_u32 v17, vcc_lo, v18, v21
	v_add_co_ci_u32_e32 v20, vcc_lo, v19, v21, vcc_lo
	s_delay_alu instid0(VALU_DEP_4) | instskip(NEXT) | instid1(VALU_DEP_4)
	v_add_co_u32 v10, vcc_lo, v11, v10
	v_add_co_ci_u32_e32 v11, vcc_lo, 0, v16, vcc_lo
	s_delay_alu instid0(VALU_DEP_4) | instskip(NEXT) | instid1(VALU_DEP_3)
	v_xor_b32_e32 v22, v17, v21
	v_add_co_u32 v16, vcc_lo, v4, v10
	s_delay_alu instid0(VALU_DEP_3) | instskip(SKIP_1) | instid1(VALU_DEP_3)
	v_add_co_ci_u32_e32 v23, vcc_lo, v5, v11, vcc_lo
	v_xor_b32_e32 v20, v20, v21
	v_mul_hi_u32 v24, v22, v16
	s_delay_alu instid0(VALU_DEP_3) | instskip(NEXT) | instid1(VALU_DEP_3)
	v_mad_u64_u32 v[4:5], null, v22, v23, 0
	v_mad_u64_u32 v[10:11], null, v20, v16, 0
	;; [unrolled: 1-line block ×3, first 2 shown]
	s_delay_alu instid0(VALU_DEP_3) | instskip(NEXT) | instid1(VALU_DEP_4)
	v_add_co_u32 v4, vcc_lo, v24, v4
	v_add_co_ci_u32_e32 v5, vcc_lo, 0, v5, vcc_lo
	s_delay_alu instid0(VALU_DEP_2) | instskip(NEXT) | instid1(VALU_DEP_2)
	v_add_co_u32 v4, vcc_lo, v4, v10
	v_add_co_ci_u32_e32 v4, vcc_lo, v5, v11, vcc_lo
	v_add_co_ci_u32_e32 v5, vcc_lo, 0, v17, vcc_lo
	s_delay_alu instid0(VALU_DEP_2) | instskip(NEXT) | instid1(VALU_DEP_2)
	v_add_co_u32 v10, vcc_lo, v4, v16
	v_add_co_ci_u32_e32 v11, vcc_lo, 0, v5, vcc_lo
	s_delay_alu instid0(VALU_DEP_2) | instskip(SKIP_1) | instid1(VALU_DEP_3)
	v_mul_lo_u32 v16, s7, v10
	v_mad_u64_u32 v[4:5], null, s6, v10, 0
	v_mul_lo_u32 v17, s6, v11
	s_delay_alu instid0(VALU_DEP_2) | instskip(NEXT) | instid1(VALU_DEP_2)
	v_sub_co_u32 v4, vcc_lo, v22, v4
	v_add3_u32 v5, v5, v17, v16
	s_delay_alu instid0(VALU_DEP_1) | instskip(NEXT) | instid1(VALU_DEP_1)
	v_sub_nc_u32_e32 v16, v20, v5
	v_subrev_co_ci_u32_e64 v16, s2, s7, v16, vcc_lo
	v_add_co_u32 v17, s2, v10, 2
	s_delay_alu instid0(VALU_DEP_1) | instskip(SKIP_3) | instid1(VALU_DEP_3)
	v_add_co_ci_u32_e64 v22, s2, 0, v11, s2
	v_sub_co_u32 v23, s2, v4, s6
	v_sub_co_ci_u32_e32 v5, vcc_lo, v20, v5, vcc_lo
	v_subrev_co_ci_u32_e64 v16, s2, 0, v16, s2
	v_cmp_le_u32_e32 vcc_lo, s6, v23
	s_delay_alu instid0(VALU_DEP_3) | instskip(SKIP_1) | instid1(VALU_DEP_4)
	v_cmp_eq_u32_e64 s2, s7, v5
	v_cndmask_b32_e64 v20, 0, -1, vcc_lo
	v_cmp_le_u32_e32 vcc_lo, s7, v16
	v_cndmask_b32_e64 v23, 0, -1, vcc_lo
	v_cmp_le_u32_e32 vcc_lo, s6, v4
	;; [unrolled: 2-line block ×3, first 2 shown]
	v_cndmask_b32_e64 v24, 0, -1, vcc_lo
	v_cmp_eq_u32_e32 vcc_lo, s7, v16
	s_delay_alu instid0(VALU_DEP_2) | instskip(SKIP_3) | instid1(VALU_DEP_3)
	v_cndmask_b32_e64 v4, v24, v4, s2
	v_cndmask_b32_e32 v16, v23, v20, vcc_lo
	v_add_co_u32 v20, vcc_lo, v10, 1
	v_add_co_ci_u32_e32 v23, vcc_lo, 0, v11, vcc_lo
	v_cmp_ne_u32_e32 vcc_lo, 0, v16
	s_delay_alu instid0(VALU_DEP_2) | instskip(SKIP_2) | instid1(VALU_DEP_3)
	v_dual_cndmask_b32 v5, v23, v22 :: v_dual_cndmask_b32 v16, v20, v17
	v_cmp_ne_u32_e32 vcc_lo, 0, v4
	v_xor_b32_e32 v4, s4, v21
	v_dual_cndmask_b32 v10, v10, v16 :: v_dual_cndmask_b32 v5, v11, v5
	s_delay_alu instid0(VALU_DEP_1) | instskip(NEXT) | instid1(VALU_DEP_2)
	v_xor_b32_e32 v10, v10, v4
	v_xor_b32_e32 v5, v5, v4
	s_delay_alu instid0(VALU_DEP_2) | instskip(NEXT) | instid1(VALU_DEP_2)
	v_sub_co_u32 v16, vcc_lo, v10, v4
	v_sub_co_ci_u32_e32 v17, vcc_lo, v5, v4, vcc_lo
.LBB4_23:
	s_and_not1_saveexec_b32 s2, s3
	s_cbranch_execz .LBB4_25
; %bb.24:
	v_cvt_f32_u32_e32 v4, s40
	s_sub_i32 s3, 0, s40
	v_mov_b32_e32 v17, 0
	s_delay_alu instid0(VALU_DEP_2) | instskip(SKIP_2) | instid1(VALU_DEP_1)
	v_rcp_iflag_f32_e32 v4, v4
	s_waitcnt_depctr 0xfff
	v_mul_f32_e32 v4, 0x4f7ffffe, v4
	v_cvt_u32_f32_e32 v4, v4
	s_delay_alu instid0(VALU_DEP_1) | instskip(NEXT) | instid1(VALU_DEP_1)
	v_mul_lo_u32 v5, s3, v4
	v_mul_hi_u32 v5, v4, v5
	s_delay_alu instid0(VALU_DEP_1) | instskip(NEXT) | instid1(VALU_DEP_1)
	v_add_nc_u32_e32 v4, v4, v5
	v_mul_hi_u32 v4, v18, v4
	s_delay_alu instid0(VALU_DEP_1) | instskip(SKIP_1) | instid1(VALU_DEP_2)
	v_mul_lo_u32 v5, v4, s40
	v_add_nc_u32_e32 v10, 1, v4
	v_sub_nc_u32_e32 v5, v18, v5
	s_delay_alu instid0(VALU_DEP_1) | instskip(SKIP_1) | instid1(VALU_DEP_2)
	v_subrev_nc_u32_e32 v11, s40, v5
	v_cmp_le_u32_e32 vcc_lo, s40, v5
	v_dual_cndmask_b32 v5, v5, v11 :: v_dual_cndmask_b32 v4, v4, v10
	s_delay_alu instid0(VALU_DEP_1) | instskip(NEXT) | instid1(VALU_DEP_2)
	v_cmp_le_u32_e32 vcc_lo, s40, v5
	v_add_nc_u32_e32 v10, 1, v4
	s_delay_alu instid0(VALU_DEP_1)
	v_cndmask_b32_e32 v16, v4, v10, vcc_lo
.LBB4_25:
	s_or_b32 exec_lo, exec_lo, s2
	v_mul_lo_u32 v10, v7, s22
	v_mul_lo_u32 v11, v6, s23
	v_mad_u64_u32 v[4:5], null, v6, s22, 0
	v_mul_lo_u32 v1, v1, s38
	v_mul_lo_u32 v46, v17, s40
	;; [unrolled: 1-line block ×5, first 2 shown]
	s_load_b64 s[0:1], s[0:1], 0x80
	v_add3_u32 v5, v5, v11, v10
	v_sub_co_u32 v8, vcc_lo, v8, v4
	s_delay_alu instid0(VALU_DEP_2) | instskip(NEXT) | instid1(VALU_DEP_2)
	v_sub_co_ci_u32_e32 v9, vcc_lo, v9, v5, vcc_lo
	v_mul_lo_u32 v10, v8, s29
	v_mad_u64_u32 v[4:5], null, v8, s28, s[16:17]
	s_delay_alu instid0(VALU_DEP_3) | instskip(SKIP_1) | instid1(VALU_DEP_2)
	v_mul_lo_u32 v8, v9, s28
	v_mul_lo_u32 v9, v6, s31
	v_add3_u32 v5, v8, v5, v10
	v_mul_lo_u32 v10, v7, s30
	s_waitcnt lgkmcnt(0)
	v_mul_lo_u32 v13, v13, s0
	s_delay_alu instid0(VALU_DEP_3) | instskip(SKIP_2) | instid1(VALU_DEP_3)
	v_mad_u64_u32 v[7:8], null, v6, s30, v[4:5]
	v_mul_lo_u32 v5, v2, s37
	v_mul_lo_u32 v6, v3, s36
	v_add3_u32 v8, v10, v8, v9
	s_delay_alu instid0(VALU_DEP_1) | instskip(SKIP_1) | instid1(VALU_DEP_2)
	v_mad_u64_u32 v[3:4], null, v2, s36, v[7:8]
	v_mul_lo_u32 v2, v0, s39
	v_add3_u32 v4, v6, v4, v5
	s_delay_alu instid0(VALU_DEP_1) | instskip(NEXT) | instid1(VALU_DEP_1)
	v_mad_u64_u32 v[8:9], null, v0, s38, v[3:4]
	v_add3_u32 v9, v1, v9, v2
	s_clause 0x7
	global_load_b128 v[21:24], v[8:9], off
	global_load_b128 v[25:28], v[8:9], off offset:16
	global_load_b128 v[4:7], v[8:9], off offset:32
	;; [unrolled: 1-line block ×7, first 2 shown]
	s_waitcnt vmcnt(7)
	v_max_f32_e32 v20, v21, v21
	s_delay_alu instid0(VALU_DEP_1) | instskip(NEXT) | instid1(VALU_DEP_1)
	v_min_f32_e32 v41, 0x7f7fffff, v20
	v_cmp_lt_f32_e32 vcc_lo, v22, v41
	v_dual_max_f32 v20, 0xff7fffff, v20 :: v_dual_cndmask_b32 v41, v41, v22
	s_delay_alu instid0(VALU_DEP_1) | instskip(SKIP_1) | instid1(VALU_DEP_3)
	v_cmp_gt_f32_e32 vcc_lo, v22, v20
	v_cndmask_b32_e32 v20, v20, v22, vcc_lo
	v_cmp_lt_f32_e32 vcc_lo, v23, v41
	v_cndmask_b32_e32 v41, v41, v23, vcc_lo
	s_delay_alu instid0(VALU_DEP_3) | instskip(SKIP_1) | instid1(VALU_DEP_3)
	v_cmp_gt_f32_e32 vcc_lo, v23, v20
	v_cndmask_b32_e32 v20, v20, v23, vcc_lo
	v_cmp_lt_f32_e32 vcc_lo, v24, v41
	v_cndmask_b32_e32 v41, v41, v24, vcc_lo
	s_delay_alu instid0(VALU_DEP_3) | instskip(SKIP_2) | instid1(VALU_DEP_3)
	v_cmp_gt_f32_e32 vcc_lo, v24, v20
	v_cndmask_b32_e32 v20, v20, v24, vcc_lo
	s_waitcnt vmcnt(6)
	v_cmp_lt_f32_e32 vcc_lo, v25, v41
	v_cndmask_b32_e32 v41, v41, v25, vcc_lo
	s_delay_alu instid0(VALU_DEP_3) | instskip(SKIP_1) | instid1(VALU_DEP_3)
	v_cmp_gt_f32_e32 vcc_lo, v25, v20
	v_cndmask_b32_e32 v20, v20, v25, vcc_lo
	v_cmp_lt_f32_e32 vcc_lo, v26, v41
	v_cndmask_b32_e32 v41, v41, v26, vcc_lo
	s_delay_alu instid0(VALU_DEP_3) | instskip(SKIP_1) | instid1(VALU_DEP_3)
	v_cmp_gt_f32_e32 vcc_lo, v26, v20
	v_cndmask_b32_e32 v20, v20, v26, vcc_lo
	v_cmp_lt_f32_e32 vcc_lo, v27, v41
	v_cndmask_b32_e32 v41, v41, v27, vcc_lo
	s_delay_alu instid0(VALU_DEP_3) | instskip(SKIP_1) | instid1(VALU_DEP_3)
	v_cmp_gt_f32_e32 vcc_lo, v27, v20
	v_cndmask_b32_e32 v20, v20, v27, vcc_lo
	v_cmp_lt_f32_e32 vcc_lo, v28, v41
	v_cndmask_b32_e32 v41, v41, v28, vcc_lo
	s_delay_alu instid0(VALU_DEP_3) | instskip(SKIP_2) | instid1(VALU_DEP_3)
	v_cmp_gt_f32_e32 vcc_lo, v28, v20
	v_cndmask_b32_e32 v20, v20, v28, vcc_lo
	s_waitcnt vmcnt(5)
	v_cmp_lt_f32_e32 vcc_lo, v4, v41
	v_cndmask_b32_e32 v41, v41, v4, vcc_lo
	s_delay_alu instid0(VALU_DEP_3) | instskip(SKIP_1) | instid1(VALU_DEP_3)
	v_cmp_gt_f32_e32 vcc_lo, v4, v20
	v_cndmask_b32_e32 v20, v20, v4, vcc_lo
	v_cmp_lt_f32_e32 vcc_lo, v5, v41
	v_cndmask_b32_e32 v41, v41, v5, vcc_lo
	s_delay_alu instid0(VALU_DEP_3) | instskip(SKIP_1) | instid1(VALU_DEP_3)
	;; [unrolled: 21-line block ×7, first 2 shown]
	v_cmp_gt_f32_e32 vcc_lo, v9, v20
	v_cndmask_b32_e32 v20, v20, v9, vcc_lo
	v_cmp_lt_f32_e32 vcc_lo, v10, v41
	v_cndmask_b32_e32 v41, v41, v10, vcc_lo
	s_delay_alu instid0(VALU_DEP_3) | instskip(SKIP_1) | instid1(VALU_DEP_3)
	v_cmp_gt_f32_e32 vcc_lo, v10, v20
	v_cndmask_b32_e32 v42, v20, v10, vcc_lo
	v_cmp_lt_f32_e32 vcc_lo, v11, v41
	v_cndmask_b32_e32 v20, v41, v11, vcc_lo
	s_delay_alu instid0(VALU_DEP_3) | instskip(SKIP_1) | instid1(VALU_DEP_1)
	v_cmp_gt_f32_e32 vcc_lo, v11, v42
	v_cndmask_b32_e32 v41, v42, v11, vcc_lo
	v_sub_f32_e32 v43, v41, v20
	v_mad_u64_u32 v[41:42], null, v16, s40, 0
	s_delay_alu instid0(VALU_DEP_2) | instskip(NEXT) | instid1(VALU_DEP_2)
	v_div_scale_f32 v44, null, 0x41700000, 0x41700000, v43
	v_add3_u32 v42, v42, v47, v46
	s_delay_alu instid0(VALU_DEP_2) | instskip(SKIP_1) | instid1(VALU_DEP_4)
	v_rcp_f32_e32 v45, v44
	v_div_scale_f32 v46, vcc_lo, v43, 0x41700000, v43
	v_sub_co_u32 v18, s2, v18, v41
	s_delay_alu instid0(VALU_DEP_1) | instskip(SKIP_3) | instid1(VALU_DEP_2)
	v_sub_co_ci_u32_e64 v19, s2, v19, v42, s2
	s_waitcnt_depctr 0xfff
	v_fma_f32 v48, -v44, v45, 1.0
	v_ashrrev_i32_e32 v41, 31, v19
	v_fmac_f32_e32 v45, v48, v45
	s_delay_alu instid0(VALU_DEP_2)
	v_lshrrev_b32_e32 v41, 27, v41
	v_sub_f32_e32 v22, v22, v20
	v_sub_f32_e32 v23, v23, v20
	;; [unrolled: 1-line block ×3, first 2 shown]
	v_mul_f32_e32 v47, v46, v45
	v_add_co_u32 v18, s2, v18, v41
	s_delay_alu instid0(VALU_DEP_1) | instskip(NEXT) | instid1(VALU_DEP_3)
	v_add_co_ci_u32_e64 v19, s2, 0, v19, s2
	v_fma_f32 v42, -v44, v47, v46
	v_sub_f32_e32 v33, v33, v20
	v_sub_f32_e32 v35, v35, v20
	;; [unrolled: 1-line block ×4, first 2 shown]
	v_fmac_f32_e32 v47, v42, v45
	v_ashrrev_i64 v[41:42], 5, v[18:19]
	v_sub_f32_e32 v8, v8, v20
	v_sub_f32_e32 v10, v10, v20
	;; [unrolled: 1-line block ×3, first 2 shown]
	v_fma_f32 v44, -v44, v47, v46
	v_sub_f32_e32 v34, v34, v20
	v_mul_lo_u32 v19, v41, s47
	v_sub_f32_e32 v27, v27, v20
	v_sub_f32_e32 v36, v36, v20
	v_div_fmas_f32 v18, v44, v45, v47
	v_mul_lo_u32 v44, v42, s46
	v_sub_f32_e32 v4, v4, v20
	v_sub_f32_e32 v5, v5, v20
	;; [unrolled: 1-line block ×3, first 2 shown]
	v_div_fixup_f32 v18, v18, 0x41700000, v43
	v_mad_u64_u32 v[42:43], null, v41, s46, s[18:19]
	v_sub_f32_e32 v6, v6, v20
	v_sub_f32_e32 v7, v7, v20
	s_delay_alu instid0(VALU_DEP_4) | instskip(SKIP_3) | instid1(VALU_DEP_4)
	v_div_scale_f32 v41, null, v18, v18, 1.0
	v_sub_f32_e32 v0, v0, v20
	v_sub_f32_e32 v1, v1, v20
	v_add3_u32 v43, v44, v43, v19
	v_rcp_f32_e32 v46, v41
	v_mul_lo_u32 v19, v16, s49
	v_sub_f32_e32 v9, v9, v20
	v_sub_f32_e32 v2, v2, v20
	v_mad_u64_u32 v[44:45], null, v16, s48, v[42:43]
	v_sub_f32_e32 v16, v21, v20
	v_sub_f32_e32 v21, v29, v20
	v_div_scale_f32 v29, vcc_lo, 1.0, v18, 1.0
	s_delay_alu instid0(TRANS32_DEP_1)
	v_fma_f32 v17, -v41, v46, 1.0
	v_sub_f32_e32 v3, v3, v20
	v_sub_f32_e32 v11, v11, v20
	v_add3_u32 v45, v74, v45, v19
	v_mul_lo_u32 v19, v14, s51
	v_dual_fmac_f32 v46, v17, v46 :: v_dual_sub_f32 v17, v30, v20
	v_sub_f32_e32 v30, v31, v20
	s_delay_alu instid0(VALU_DEP_4) | instskip(NEXT) | instid1(VALU_DEP_3)
	v_mad_u64_u32 v[74:75], null, v14, s50, v[44:45]
	v_mul_f32_e32 v31, v29, v46
	s_delay_alu instid0(VALU_DEP_1) | instskip(SKIP_1) | instid1(VALU_DEP_4)
	v_fma_f32 v42, -v41, v31, v29
	v_sub_f32_e32 v24, v24, v20
	v_add3_u32 v75, v76, v75, v19
	v_mul_lo_u32 v19, v12, s1
	s_delay_alu instid0(VALU_DEP_4) | instskip(NEXT) | instid1(VALU_DEP_1)
	v_fmac_f32_e32 v31, v42, v46
	v_fma_f32 v29, -v41, v31, v29
	s_delay_alu instid0(VALU_DEP_1) | instskip(SKIP_3) | instid1(VALU_DEP_4)
	v_div_fmas_f32 v29, v29, v46, v31
	v_cmp_neq_f32_e32 vcc_lo, 0, v18
	v_sub_f32_e32 v31, v39, v20
	v_sub_f32_e32 v39, v40, v20
	v_div_fixup_f32 v29, v29, v18, 1.0
	v_sub_f32_e32 v32, v32, v20
	v_cvt_f16_f32_e32 v18, v18
	s_delay_alu instid0(VALU_DEP_3) | instskip(NEXT) | instid1(VALU_DEP_1)
	v_cndmask_b32_e32 v29, 0, v29, vcc_lo
	v_fma_f32 v16, v16, v29, 0.5
	v_fma_f32 v21, v21, v29, 0.5
	;; [unrolled: 1-line block ×32, first 2 shown]
	v_cvt_i32_f32_e32 v43, v16
	v_cvt_i32_f32_e32 v16, v21
	;; [unrolled: 1-line block ×32, first 2 shown]
	v_cvt_f64_i32_e32 v[0:1], v16
	v_cvt_f64_i32_e32 v[2:3], v17
	;; [unrolled: 1-line block ×32, first 2 shown]
	v_min_f64 v[0:1], 0x402e0000, v[0:1]
	v_min_f64 v[2:3], 0x402e0000, v[2:3]
	;; [unrolled: 1-line block ×32, first 2 shown]
	v_mad_u64_u32 v[69:70], null, v12, s0, v[74:75]
	v_cvt_i32_f64_e32 v0, v[0:1]
	v_cvt_i32_f64_e32 v1, v[2:3]
	;; [unrolled: 1-line block ×32, first 2 shown]
	v_add3_u32 v70, v13, v70, v19
	v_cvt_f16_f32_e32 v13, v20
	v_lshlrev_b16 v0, 4, v0
	v_lshlrev_b16 v1, 4, v1
	;; [unrolled: 1-line block ×24, first 2 shown]
	v_or_b32_e32 v0, v0, v28
	v_or_b32_e32 v1, v1, v29
	v_or_b32_e32 v2, v2, v30
	v_or_b32_e32 v3, v3, v31
	v_or_b32_e32 v4, v4, v32
	v_or_b32_e32 v5, v5, v33
	v_or_b32_e32 v6, v6, v34
	v_or_b32_e32 v7, v7, v35
	v_or_b32_e32 v8, v9, v8
	v_or_b32_e32 v9, v11, v10
	v_or_b32_e32 v10, v14, v12
	v_or_b32_e32 v11, v16, v15
	v_or_b32_e32 v12, v19, v17
	v_or_b32_e32 v14, v21, v20
	v_or_b32_e32 v15, v23, v22
	v_or_b32_e32 v16, v25, v24
	v_and_b32_e32 v6, 0xff, v6
	v_and_b32_e32 v7, 0xff, v7
	;; [unrolled: 1-line block ×8, first 2 shown]
	v_or_b32_e32 v6, v6, v8
	v_or_b32_e32 v7, v7, v9
	;; [unrolled: 1-line block ×8, first 2 shown]
	v_and_b32_e32 v6, 0xffff, v6
	v_lshlrev_b32_e32 v7, 16, v7
	v_and_b32_e32 v4, 0xffff, v4
	v_lshlrev_b32_e32 v5, 16, v5
	;; [unrolled: 2-line block ×4, first 2 shown]
	v_pack_b32_f16 v11, v18, v13
	v_or_b32_e32 v3, v6, v7
	v_or_b32_e32 v2, v4, v5
	v_or_b32_e32 v1, v8, v9
	v_or_b32_e32 v0, v0, v10
	s_clause 0x1
	global_store_b32 v[69:70], v11, off
	global_store_b128 v[69:70], v[0:3], off offset:4
.LBB4_26:
	s_nop 0
	s_sendmsg sendmsg(MSG_DEALLOC_VGPRS)
	s_endpgm
	.section	.rodata,"a",@progbits
	.p2align	6, 0x0
	.amdhsa_kernel _ZL9cpy_f32_qIXadL_ZL17cpy_blck_f32_q4_1PKcPcEELi32EEvS1_S2_lllllllllllllll
		.amdhsa_group_segment_fixed_size 0
		.amdhsa_private_segment_fixed_size 0
		.amdhsa_kernarg_size 392
		.amdhsa_user_sgpr_count 15
		.amdhsa_user_sgpr_dispatch_ptr 0
		.amdhsa_user_sgpr_queue_ptr 0
		.amdhsa_user_sgpr_kernarg_segment_ptr 1
		.amdhsa_user_sgpr_dispatch_id 0
		.amdhsa_user_sgpr_private_segment_size 0
		.amdhsa_wavefront_size32 1
		.amdhsa_uses_dynamic_stack 0
		.amdhsa_enable_private_segment 0
		.amdhsa_system_sgpr_workgroup_id_x 1
		.amdhsa_system_sgpr_workgroup_id_y 0
		.amdhsa_system_sgpr_workgroup_id_z 0
		.amdhsa_system_sgpr_workgroup_info 0
		.amdhsa_system_vgpr_workitem_id 0
		.amdhsa_next_free_vgpr 77
		.amdhsa_next_free_sgpr 52
		.amdhsa_reserve_vcc 1
		.amdhsa_float_round_mode_32 0
		.amdhsa_float_round_mode_16_64 0
		.amdhsa_float_denorm_mode_32 3
		.amdhsa_float_denorm_mode_16_64 3
		.amdhsa_dx10_clamp 1
		.amdhsa_ieee_mode 1
		.amdhsa_fp16_overflow 0
		.amdhsa_workgroup_processor_mode 1
		.amdhsa_memory_ordered 1
		.amdhsa_forward_progress 0
		.amdhsa_shared_vgpr_count 0
		.amdhsa_exception_fp_ieee_invalid_op 0
		.amdhsa_exception_fp_denorm_src 0
		.amdhsa_exception_fp_ieee_div_zero 0
		.amdhsa_exception_fp_ieee_overflow 0
		.amdhsa_exception_fp_ieee_underflow 0
		.amdhsa_exception_fp_ieee_inexact 0
		.amdhsa_exception_int_div_zero 0
	.end_amdhsa_kernel
	.section	.text._ZL9cpy_f32_qIXadL_ZL17cpy_blck_f32_q4_1PKcPcEELi32EEvS1_S2_lllllllllllllll,"axG",@progbits,_ZL9cpy_f32_qIXadL_ZL17cpy_blck_f32_q4_1PKcPcEELi32EEvS1_S2_lllllllllllllll,comdat
.Lfunc_end4:
	.size	_ZL9cpy_f32_qIXadL_ZL17cpy_blck_f32_q4_1PKcPcEELi32EEvS1_S2_lllllllllllllll, .Lfunc_end4-_ZL9cpy_f32_qIXadL_ZL17cpy_blck_f32_q4_1PKcPcEELi32EEvS1_S2_lllllllllllllll
                                        ; -- End function
	.section	.AMDGPU.csdata,"",@progbits
; Kernel info:
; codeLenInByte = 9308
; NumSgprs: 54
; NumVgprs: 77
; ScratchSize: 0
; MemoryBound: 0
; FloatMode: 240
; IeeeMode: 1
; LDSByteSize: 0 bytes/workgroup (compile time only)
; SGPRBlocks: 6
; VGPRBlocks: 9
; NumSGPRsForWavesPerEU: 54
; NumVGPRsForWavesPerEU: 77
; Occupancy: 16
; WaveLimiterHint : 0
; COMPUTE_PGM_RSRC2:SCRATCH_EN: 0
; COMPUTE_PGM_RSRC2:USER_SGPR: 15
; COMPUTE_PGM_RSRC2:TRAP_HANDLER: 0
; COMPUTE_PGM_RSRC2:TGID_X_EN: 1
; COMPUTE_PGM_RSRC2:TGID_Y_EN: 0
; COMPUTE_PGM_RSRC2:TGID_Z_EN: 0
; COMPUTE_PGM_RSRC2:TIDIG_COMP_CNT: 0
	.section	.text._ZL9cpy_q_f32IXadL_ZL14cpy_blck_q_f32IXadL_ZL15dequantize_q4_1PKvliR15HIP_vector_typeIfLj2EEEELi32EEvPKcPcEELi32EEvS7_S8_lllllllllllllll,"axG",@progbits,_ZL9cpy_q_f32IXadL_ZL14cpy_blck_q_f32IXadL_ZL15dequantize_q4_1PKvliR15HIP_vector_typeIfLj2EEEELi32EEvPKcPcEELi32EEvS7_S8_lllllllllllllll,comdat
	.globl	_ZL9cpy_q_f32IXadL_ZL14cpy_blck_q_f32IXadL_ZL15dequantize_q4_1PKvliR15HIP_vector_typeIfLj2EEEELi32EEvPKcPcEELi32EEvS7_S8_lllllllllllllll ; -- Begin function _ZL9cpy_q_f32IXadL_ZL14cpy_blck_q_f32IXadL_ZL15dequantize_q4_1PKvliR15HIP_vector_typeIfLj2EEEELi32EEvPKcPcEELi32EEvS7_S8_lllllllllllllll
	.p2align	8
	.type	_ZL9cpy_q_f32IXadL_ZL14cpy_blck_q_f32IXadL_ZL15dequantize_q4_1PKvliR15HIP_vector_typeIfLj2EEEELi32EEvPKcPcEELi32EEvS7_S8_lllllllllllllll,@function
_ZL9cpy_q_f32IXadL_ZL14cpy_blck_q_f32IXadL_ZL15dequantize_q4_1PKvliR15HIP_vector_typeIfLj2EEEELi32EEvPKcPcEELi32EEvS7_S8_lllllllllllllll: ; @_ZL9cpy_q_f32IXadL_ZL14cpy_blck_q_f32IXadL_ZL15dequantize_q4_1PKvliR15HIP_vector_typeIfLj2EEEELi32EEvPKcPcEELi32EEvS7_S8_lllllllllllllll
; %bb.0:
	s_load_b32 s2, s[0:1], 0x94
	v_mov_b32_e32 v2, 0
	s_load_b512 s[16:31], s[0:1], 0x0
	s_delay_alu instid0(VALU_DEP_1)
	v_mov_b32_e32 v1, v2
	s_waitcnt lgkmcnt(0)
	s_and_b32 s2, s2, 0xffff
	s_delay_alu instid0(VALU_DEP_1) | instid1(SALU_CYCLE_1)
	v_mad_u64_u32 v[3:4], null, s2, s15, v[0:1]
	s_mov_b32 s2, exec_lo
	s_delay_alu instid0(VALU_DEP_1) | instskip(NEXT) | instid1(VALU_DEP_1)
	v_lshlrev_b64 v[4:5], 5, v[3:4]
	v_cmpx_gt_i64_e64 s[20:21], v[4:5]
	s_cbranch_execz .LBB5_26
; %bb.1:
	s_mul_i32 s2, s24, s23
	s_mul_hi_u32 s3, s24, s22
                                        ; implicit-def: $vgpr0_vgpr1
	s_delay_alu instid0(SALU_CYCLE_1)
	s_add_i32 s8, s3, s2
	s_mul_i32 s3, s24, s22
	s_mul_i32 s2, s25, s22
	;; [unrolled: 1-line block ×3, first 2 shown]
	s_mul_hi_u32 s5, s3, s26
	s_add_i32 s8, s8, s2
	s_add_i32 s2, s5, s4
	s_mul_i32 s4, s8, s26
	s_mul_i32 s10, s3, s26
	s_add_i32 s9, s2, s4
	s_mov_b32 s2, exec_lo
	v_or_b32_e32 v3, s9, v5
	s_delay_alu instid0(VALU_DEP_1)
	v_cmpx_ne_u64_e32 0, v[2:3]
	s_xor_b32 s11, exec_lo, s2
	s_cbranch_execz .LBB5_3
; %bb.2:
	s_ashr_i32 s4, s9, 31
	s_delay_alu instid0(SALU_CYCLE_1) | instskip(SKIP_2) | instid1(SALU_CYCLE_1)
	s_add_u32 s6, s10, s4
	s_mov_b32 s5, s4
	s_addc_u32 s7, s9, s4
	s_xor_b64 s[6:7], s[6:7], s[4:5]
	s_delay_alu instid0(SALU_CYCLE_1) | instskip(SKIP_3) | instid1(VALU_DEP_1)
	v_cvt_f32_u32_e32 v0, s6
	v_cvt_f32_u32_e32 v1, s7
	s_sub_u32 s2, 0, s6
	s_subb_u32 s5, 0, s7
	v_fmamk_f32 v0, v1, 0x4f800000, v0
	s_delay_alu instid0(VALU_DEP_1) | instskip(SKIP_2) | instid1(VALU_DEP_1)
	v_rcp_f32_e32 v0, v0
	s_waitcnt_depctr 0xfff
	v_mul_f32_e32 v0, 0x5f7ffffc, v0
	v_mul_f32_e32 v1, 0x2f800000, v0
	s_delay_alu instid0(VALU_DEP_1) | instskip(NEXT) | instid1(VALU_DEP_1)
	v_trunc_f32_e32 v1, v1
	v_fmamk_f32 v0, v1, 0xcf800000, v0
	v_cvt_u32_f32_e32 v1, v1
	s_delay_alu instid0(VALU_DEP_2) | instskip(NEXT) | instid1(VALU_DEP_2)
	v_cvt_u32_f32_e32 v0, v0
	v_mul_lo_u32 v2, s2, v1
	s_delay_alu instid0(VALU_DEP_2) | instskip(SKIP_1) | instid1(VALU_DEP_2)
	v_mul_hi_u32 v3, s2, v0
	v_mul_lo_u32 v6, s5, v0
	v_add_nc_u32_e32 v2, v3, v2
	v_mul_lo_u32 v3, s2, v0
	s_delay_alu instid0(VALU_DEP_2) | instskip(NEXT) | instid1(VALU_DEP_2)
	v_add_nc_u32_e32 v2, v2, v6
	v_mul_hi_u32 v6, v0, v3
	s_delay_alu instid0(VALU_DEP_2)
	v_mul_lo_u32 v7, v0, v2
	v_mul_hi_u32 v8, v0, v2
	v_mul_hi_u32 v9, v1, v3
	v_mul_lo_u32 v3, v1, v3
	v_mul_hi_u32 v10, v1, v2
	v_mul_lo_u32 v2, v1, v2
	v_add_co_u32 v6, vcc_lo, v6, v7
	v_add_co_ci_u32_e32 v7, vcc_lo, 0, v8, vcc_lo
	s_delay_alu instid0(VALU_DEP_2) | instskip(NEXT) | instid1(VALU_DEP_2)
	v_add_co_u32 v3, vcc_lo, v6, v3
	v_add_co_ci_u32_e32 v3, vcc_lo, v7, v9, vcc_lo
	v_add_co_ci_u32_e32 v6, vcc_lo, 0, v10, vcc_lo
	s_delay_alu instid0(VALU_DEP_2) | instskip(NEXT) | instid1(VALU_DEP_2)
	v_add_co_u32 v2, vcc_lo, v3, v2
	v_add_co_ci_u32_e32 v3, vcc_lo, 0, v6, vcc_lo
	s_delay_alu instid0(VALU_DEP_2) | instskip(NEXT) | instid1(VALU_DEP_2)
	v_add_co_u32 v0, vcc_lo, v0, v2
	v_add_co_ci_u32_e32 v1, vcc_lo, v1, v3, vcc_lo
	s_delay_alu instid0(VALU_DEP_2) | instskip(SKIP_1) | instid1(VALU_DEP_3)
	v_mul_hi_u32 v2, s2, v0
	v_mul_lo_u32 v6, s5, v0
	v_mul_lo_u32 v3, s2, v1
	s_delay_alu instid0(VALU_DEP_1) | instskip(SKIP_1) | instid1(VALU_DEP_2)
	v_add_nc_u32_e32 v2, v2, v3
	v_mul_lo_u32 v3, s2, v0
	v_add_nc_u32_e32 v2, v2, v6
	s_delay_alu instid0(VALU_DEP_2) | instskip(NEXT) | instid1(VALU_DEP_2)
	v_mul_hi_u32 v6, v0, v3
	v_mul_lo_u32 v7, v0, v2
	v_mul_hi_u32 v8, v0, v2
	v_mul_hi_u32 v9, v1, v3
	v_mul_lo_u32 v3, v1, v3
	v_mul_hi_u32 v10, v1, v2
	v_mul_lo_u32 v2, v1, v2
	v_add_co_u32 v6, vcc_lo, v6, v7
	v_add_co_ci_u32_e32 v7, vcc_lo, 0, v8, vcc_lo
	s_delay_alu instid0(VALU_DEP_2) | instskip(NEXT) | instid1(VALU_DEP_2)
	v_add_co_u32 v3, vcc_lo, v6, v3
	v_add_co_ci_u32_e32 v3, vcc_lo, v7, v9, vcc_lo
	v_add_co_ci_u32_e32 v6, vcc_lo, 0, v10, vcc_lo
	s_delay_alu instid0(VALU_DEP_2) | instskip(NEXT) | instid1(VALU_DEP_2)
	v_add_co_u32 v2, vcc_lo, v3, v2
	v_add_co_ci_u32_e32 v3, vcc_lo, 0, v6, vcc_lo
	s_delay_alu instid0(VALU_DEP_2) | instskip(NEXT) | instid1(VALU_DEP_2)
	v_add_co_u32 v6, vcc_lo, v0, v2
	v_add_co_ci_u32_e32 v8, vcc_lo, v1, v3, vcc_lo
	s_delay_alu instid0(VALU_DEP_2) | instskip(SKIP_1) | instid1(VALU_DEP_3)
	v_mul_hi_u32 v9, v4, v6
	v_mad_u64_u32 v[2:3], null, v5, v6, 0
	v_mad_u64_u32 v[0:1], null, v4, v8, 0
	;; [unrolled: 1-line block ×3, first 2 shown]
	s_delay_alu instid0(VALU_DEP_2) | instskip(NEXT) | instid1(VALU_DEP_3)
	v_add_co_u32 v0, vcc_lo, v9, v0
	v_add_co_ci_u32_e32 v1, vcc_lo, 0, v1, vcc_lo
	s_delay_alu instid0(VALU_DEP_2) | instskip(NEXT) | instid1(VALU_DEP_2)
	v_add_co_u32 v0, vcc_lo, v0, v2
	v_add_co_ci_u32_e32 v0, vcc_lo, v1, v3, vcc_lo
	v_add_co_ci_u32_e32 v1, vcc_lo, 0, v7, vcc_lo
	s_delay_alu instid0(VALU_DEP_2) | instskip(NEXT) | instid1(VALU_DEP_2)
	v_add_co_u32 v2, vcc_lo, v0, v6
	v_add_co_ci_u32_e32 v3, vcc_lo, 0, v1, vcc_lo
	s_delay_alu instid0(VALU_DEP_2) | instskip(SKIP_1) | instid1(VALU_DEP_3)
	v_mul_lo_u32 v6, s7, v2
	v_mad_u64_u32 v[0:1], null, s6, v2, 0
	v_mul_lo_u32 v7, s6, v3
	s_delay_alu instid0(VALU_DEP_2) | instskip(NEXT) | instid1(VALU_DEP_2)
	v_sub_co_u32 v0, vcc_lo, v4, v0
	v_add3_u32 v1, v1, v7, v6
	s_delay_alu instid0(VALU_DEP_1) | instskip(NEXT) | instid1(VALU_DEP_1)
	v_sub_nc_u32_e32 v6, v5, v1
	v_subrev_co_ci_u32_e64 v6, s2, s7, v6, vcc_lo
	v_add_co_u32 v7, s2, v2, 2
	s_delay_alu instid0(VALU_DEP_1) | instskip(SKIP_3) | instid1(VALU_DEP_3)
	v_add_co_ci_u32_e64 v8, s2, 0, v3, s2
	v_sub_co_u32 v9, s2, v0, s6
	v_sub_co_ci_u32_e32 v1, vcc_lo, v5, v1, vcc_lo
	v_subrev_co_ci_u32_e64 v6, s2, 0, v6, s2
	v_cmp_le_u32_e32 vcc_lo, s6, v9
	s_delay_alu instid0(VALU_DEP_3) | instskip(SKIP_1) | instid1(VALU_DEP_4)
	v_cmp_eq_u32_e64 s2, s7, v1
	v_cndmask_b32_e64 v9, 0, -1, vcc_lo
	v_cmp_le_u32_e32 vcc_lo, s7, v6
	v_cndmask_b32_e64 v10, 0, -1, vcc_lo
	v_cmp_le_u32_e32 vcc_lo, s6, v0
	;; [unrolled: 2-line block ×3, first 2 shown]
	v_cndmask_b32_e64 v11, 0, -1, vcc_lo
	v_cmp_eq_u32_e32 vcc_lo, s7, v6
	s_delay_alu instid0(VALU_DEP_2) | instskip(SKIP_3) | instid1(VALU_DEP_3)
	v_cndmask_b32_e64 v0, v11, v0, s2
	v_cndmask_b32_e32 v6, v10, v9, vcc_lo
	v_add_co_u32 v9, vcc_lo, v2, 1
	v_add_co_ci_u32_e32 v10, vcc_lo, 0, v3, vcc_lo
	v_cmp_ne_u32_e32 vcc_lo, 0, v6
	s_delay_alu instid0(VALU_DEP_2) | instskip(SKIP_1) | instid1(VALU_DEP_2)
	v_dual_cndmask_b32 v1, v10, v8 :: v_dual_cndmask_b32 v6, v9, v7
	v_cmp_ne_u32_e32 vcc_lo, 0, v0
	v_dual_cndmask_b32 v0, v3, v1 :: v_dual_cndmask_b32 v1, v2, v6
	s_delay_alu instid0(VALU_DEP_1) | instskip(NEXT) | instid1(VALU_DEP_2)
	v_xor_b32_e32 v2, s4, v0
	v_xor_b32_e32 v1, s4, v1
	s_delay_alu instid0(VALU_DEP_1) | instskip(NEXT) | instid1(VALU_DEP_3)
	v_sub_co_u32 v0, vcc_lo, v1, s4
	v_subrev_co_ci_u32_e32 v1, vcc_lo, s4, v2, vcc_lo
.LBB5_3:
	s_and_not1_saveexec_b32 s2, s11
	s_cbranch_execz .LBB5_5
; %bb.4:
	v_cvt_f32_u32_e32 v0, s10
	s_sub_i32 s4, 0, s10
	s_delay_alu instid0(VALU_DEP_1) | instskip(SKIP_2) | instid1(VALU_DEP_1)
	v_rcp_iflag_f32_e32 v0, v0
	s_waitcnt_depctr 0xfff
	v_mul_f32_e32 v0, 0x4f7ffffe, v0
	v_cvt_u32_f32_e32 v0, v0
	s_delay_alu instid0(VALU_DEP_1) | instskip(NEXT) | instid1(VALU_DEP_1)
	v_mul_lo_u32 v1, s4, v0
	v_mul_hi_u32 v1, v0, v1
	s_delay_alu instid0(VALU_DEP_1) | instskip(NEXT) | instid1(VALU_DEP_1)
	v_add_nc_u32_e32 v0, v0, v1
	v_mul_hi_u32 v0, v4, v0
	s_delay_alu instid0(VALU_DEP_1) | instskip(SKIP_1) | instid1(VALU_DEP_2)
	v_mul_lo_u32 v1, v0, s10
	v_add_nc_u32_e32 v2, 1, v0
	v_sub_nc_u32_e32 v1, v4, v1
	s_delay_alu instid0(VALU_DEP_1) | instskip(SKIP_1) | instid1(VALU_DEP_2)
	v_subrev_nc_u32_e32 v3, s10, v1
	v_cmp_le_u32_e32 vcc_lo, s10, v1
	v_dual_cndmask_b32 v1, v1, v3 :: v_dual_cndmask_b32 v0, v0, v2
	s_delay_alu instid0(VALU_DEP_1) | instskip(NEXT) | instid1(VALU_DEP_2)
	v_cmp_le_u32_e32 vcc_lo, s10, v1
	v_dual_mov_b32 v1, 0 :: v_dual_add_nc_u32 v2, 1, v0
	s_delay_alu instid0(VALU_DEP_1)
	v_cndmask_b32_e32 v0, v0, v2, vcc_lo
.LBB5_5:
	s_or_b32 exec_lo, exec_lo, s2
	s_delay_alu instid0(VALU_DEP_1) | instskip(NEXT) | instid1(VALU_DEP_2)
	v_mul_lo_u32 v6, s9, v0
	v_mul_lo_u32 v7, s10, v1
	v_mad_u64_u32 v[2:3], null, s10, v0, 0
	s_delay_alu instid0(VALU_DEP_1) | instskip(NEXT) | instid1(VALU_DEP_2)
	v_add3_u32 v3, v3, v7, v6
	v_sub_co_u32 v6, vcc_lo, v4, v2
	v_mov_b32_e32 v2, 0
	s_delay_alu instid0(VALU_DEP_3) | instskip(NEXT) | instid1(VALU_DEP_1)
	v_sub_co_ci_u32_e32 v7, vcc_lo, v5, v3, vcc_lo
	v_or_b32_e32 v3, s8, v7
	s_delay_alu instid0(VALU_DEP_1) | instskip(SKIP_1) | instid1(SALU_CYCLE_1)
	v_cmp_ne_u64_e32 vcc_lo, 0, v[2:3]
                                        ; implicit-def: $vgpr2_vgpr3
	s_and_saveexec_b32 s2, vcc_lo
	s_xor_b32 s9, exec_lo, s2
	s_cbranch_execz .LBB5_7
; %bb.6:
	s_ashr_i32 s4, s8, 31
	s_delay_alu instid0(SALU_CYCLE_1) | instskip(SKIP_2) | instid1(SALU_CYCLE_1)
	s_add_u32 s6, s3, s4
	s_mov_b32 s5, s4
	s_addc_u32 s7, s8, s4
	s_xor_b64 s[6:7], s[6:7], s[4:5]
	s_delay_alu instid0(SALU_CYCLE_1) | instskip(SKIP_3) | instid1(VALU_DEP_1)
	v_cvt_f32_u32_e32 v2, s6
	v_cvt_f32_u32_e32 v3, s7
	s_sub_u32 s2, 0, s6
	s_subb_u32 s5, 0, s7
	v_fmamk_f32 v2, v3, 0x4f800000, v2
	s_delay_alu instid0(VALU_DEP_1) | instskip(SKIP_2) | instid1(VALU_DEP_1)
	v_rcp_f32_e32 v2, v2
	s_waitcnt_depctr 0xfff
	v_mul_f32_e32 v2, 0x5f7ffffc, v2
	v_mul_f32_e32 v3, 0x2f800000, v2
	s_delay_alu instid0(VALU_DEP_1) | instskip(NEXT) | instid1(VALU_DEP_1)
	v_trunc_f32_e32 v3, v3
	v_fmamk_f32 v2, v3, 0xcf800000, v2
	v_cvt_u32_f32_e32 v3, v3
	s_delay_alu instid0(VALU_DEP_2) | instskip(NEXT) | instid1(VALU_DEP_2)
	v_cvt_u32_f32_e32 v2, v2
	v_mul_lo_u32 v8, s2, v3
	s_delay_alu instid0(VALU_DEP_2) | instskip(SKIP_1) | instid1(VALU_DEP_2)
	v_mul_hi_u32 v9, s2, v2
	v_mul_lo_u32 v10, s5, v2
	v_add_nc_u32_e32 v8, v9, v8
	v_mul_lo_u32 v9, s2, v2
	s_delay_alu instid0(VALU_DEP_2) | instskip(NEXT) | instid1(VALU_DEP_2)
	v_add_nc_u32_e32 v8, v8, v10
	v_mul_hi_u32 v10, v2, v9
	s_delay_alu instid0(VALU_DEP_2)
	v_mul_lo_u32 v11, v2, v8
	v_mul_hi_u32 v12, v2, v8
	v_mul_hi_u32 v13, v3, v9
	v_mul_lo_u32 v9, v3, v9
	v_mul_hi_u32 v14, v3, v8
	v_mul_lo_u32 v8, v3, v8
	v_add_co_u32 v10, vcc_lo, v10, v11
	v_add_co_ci_u32_e32 v11, vcc_lo, 0, v12, vcc_lo
	s_delay_alu instid0(VALU_DEP_2) | instskip(NEXT) | instid1(VALU_DEP_2)
	v_add_co_u32 v9, vcc_lo, v10, v9
	v_add_co_ci_u32_e32 v9, vcc_lo, v11, v13, vcc_lo
	v_add_co_ci_u32_e32 v10, vcc_lo, 0, v14, vcc_lo
	v_ashrrev_i32_e32 v13, 31, v7
	s_delay_alu instid0(VALU_DEP_3) | instskip(NEXT) | instid1(VALU_DEP_3)
	v_add_co_u32 v8, vcc_lo, v9, v8
	v_add_co_ci_u32_e32 v9, vcc_lo, 0, v10, vcc_lo
	s_delay_alu instid0(VALU_DEP_2) | instskip(NEXT) | instid1(VALU_DEP_2)
	v_add_co_u32 v2, vcc_lo, v2, v8
	v_add_co_ci_u32_e32 v3, vcc_lo, v3, v9, vcc_lo
	s_delay_alu instid0(VALU_DEP_2) | instskip(SKIP_1) | instid1(VALU_DEP_3)
	v_mul_hi_u32 v8, s2, v2
	v_mul_lo_u32 v10, s5, v2
	v_mul_lo_u32 v9, s2, v3
	s_delay_alu instid0(VALU_DEP_1) | instskip(SKIP_1) | instid1(VALU_DEP_2)
	v_add_nc_u32_e32 v8, v8, v9
	v_mul_lo_u32 v9, s2, v2
	v_add_nc_u32_e32 v8, v8, v10
	s_delay_alu instid0(VALU_DEP_2) | instskip(NEXT) | instid1(VALU_DEP_2)
	v_mul_hi_u32 v10, v2, v9
	v_mul_lo_u32 v11, v2, v8
	v_mul_hi_u32 v12, v2, v8
	v_mul_hi_u32 v14, v3, v9
	v_mul_lo_u32 v9, v3, v9
	v_mul_hi_u32 v15, v3, v8
	v_mul_lo_u32 v8, v3, v8
	v_add_co_u32 v10, vcc_lo, v10, v11
	v_add_co_ci_u32_e32 v11, vcc_lo, 0, v12, vcc_lo
	s_delay_alu instid0(VALU_DEP_2) | instskip(NEXT) | instid1(VALU_DEP_2)
	v_add_co_u32 v9, vcc_lo, v10, v9
	v_add_co_ci_u32_e32 v9, vcc_lo, v11, v14, vcc_lo
	v_add_co_ci_u32_e32 v10, vcc_lo, 0, v15, vcc_lo
	v_add_co_u32 v11, vcc_lo, v6, v13
	v_add_co_ci_u32_e32 v12, vcc_lo, v7, v13, vcc_lo
	s_delay_alu instid0(VALU_DEP_4) | instskip(NEXT) | instid1(VALU_DEP_4)
	v_add_co_u32 v8, vcc_lo, v9, v8
	v_add_co_ci_u32_e32 v9, vcc_lo, 0, v10, vcc_lo
	s_delay_alu instid0(VALU_DEP_4) | instskip(NEXT) | instid1(VALU_DEP_3)
	v_xor_b32_e32 v14, v11, v13
	v_add_co_u32 v10, vcc_lo, v2, v8
	s_delay_alu instid0(VALU_DEP_3) | instskip(SKIP_1) | instid1(VALU_DEP_3)
	v_add_co_ci_u32_e32 v15, vcc_lo, v3, v9, vcc_lo
	v_xor_b32_e32 v12, v12, v13
	v_mul_hi_u32 v16, v14, v10
	s_delay_alu instid0(VALU_DEP_3) | instskip(NEXT) | instid1(VALU_DEP_3)
	v_mad_u64_u32 v[2:3], null, v14, v15, 0
	v_mad_u64_u32 v[8:9], null, v12, v10, 0
	;; [unrolled: 1-line block ×3, first 2 shown]
	s_delay_alu instid0(VALU_DEP_3) | instskip(NEXT) | instid1(VALU_DEP_4)
	v_add_co_u32 v2, vcc_lo, v16, v2
	v_add_co_ci_u32_e32 v3, vcc_lo, 0, v3, vcc_lo
	s_delay_alu instid0(VALU_DEP_2) | instskip(NEXT) | instid1(VALU_DEP_2)
	v_add_co_u32 v2, vcc_lo, v2, v8
	v_add_co_ci_u32_e32 v2, vcc_lo, v3, v9, vcc_lo
	v_add_co_ci_u32_e32 v3, vcc_lo, 0, v11, vcc_lo
	s_delay_alu instid0(VALU_DEP_2) | instskip(NEXT) | instid1(VALU_DEP_2)
	v_add_co_u32 v8, vcc_lo, v2, v10
	v_add_co_ci_u32_e32 v9, vcc_lo, 0, v3, vcc_lo
	s_delay_alu instid0(VALU_DEP_2) | instskip(SKIP_1) | instid1(VALU_DEP_3)
	v_mul_lo_u32 v10, s7, v8
	v_mad_u64_u32 v[2:3], null, s6, v8, 0
	v_mul_lo_u32 v11, s6, v9
	s_delay_alu instid0(VALU_DEP_2) | instskip(NEXT) | instid1(VALU_DEP_2)
	v_sub_co_u32 v2, vcc_lo, v14, v2
	v_add3_u32 v3, v3, v11, v10
	s_delay_alu instid0(VALU_DEP_1) | instskip(NEXT) | instid1(VALU_DEP_1)
	v_sub_nc_u32_e32 v10, v12, v3
	v_subrev_co_ci_u32_e64 v10, s2, s7, v10, vcc_lo
	v_add_co_u32 v11, s2, v8, 2
	s_delay_alu instid0(VALU_DEP_1) | instskip(SKIP_3) | instid1(VALU_DEP_3)
	v_add_co_ci_u32_e64 v14, s2, 0, v9, s2
	v_sub_co_u32 v15, s2, v2, s6
	v_sub_co_ci_u32_e32 v3, vcc_lo, v12, v3, vcc_lo
	v_subrev_co_ci_u32_e64 v10, s2, 0, v10, s2
	v_cmp_le_u32_e32 vcc_lo, s6, v15
	s_delay_alu instid0(VALU_DEP_3) | instskip(SKIP_1) | instid1(VALU_DEP_4)
	v_cmp_eq_u32_e64 s2, s7, v3
	v_cndmask_b32_e64 v12, 0, -1, vcc_lo
	v_cmp_le_u32_e32 vcc_lo, s7, v10
	v_cndmask_b32_e64 v15, 0, -1, vcc_lo
	v_cmp_le_u32_e32 vcc_lo, s6, v2
	;; [unrolled: 2-line block ×3, first 2 shown]
	v_cndmask_b32_e64 v16, 0, -1, vcc_lo
	v_cmp_eq_u32_e32 vcc_lo, s7, v10
	s_delay_alu instid0(VALU_DEP_2) | instskip(SKIP_3) | instid1(VALU_DEP_3)
	v_cndmask_b32_e64 v2, v16, v2, s2
	v_cndmask_b32_e32 v10, v15, v12, vcc_lo
	v_add_co_u32 v12, vcc_lo, v8, 1
	v_add_co_ci_u32_e32 v15, vcc_lo, 0, v9, vcc_lo
	v_cmp_ne_u32_e32 vcc_lo, 0, v10
	s_delay_alu instid0(VALU_DEP_2) | instskip(SKIP_2) | instid1(VALU_DEP_3)
	v_dual_cndmask_b32 v3, v15, v14 :: v_dual_cndmask_b32 v10, v12, v11
	v_cmp_ne_u32_e32 vcc_lo, 0, v2
	v_xor_b32_e32 v11, s4, v13
	v_dual_cndmask_b32 v2, v9, v3 :: v_dual_cndmask_b32 v3, v8, v10
	s_delay_alu instid0(VALU_DEP_1) | instskip(NEXT) | instid1(VALU_DEP_2)
	v_xor_b32_e32 v8, v2, v11
	v_xor_b32_e32 v3, v3, v11
	s_delay_alu instid0(VALU_DEP_1) | instskip(NEXT) | instid1(VALU_DEP_3)
	v_sub_co_u32 v2, vcc_lo, v3, v11
	v_sub_co_ci_u32_e32 v3, vcc_lo, v8, v11, vcc_lo
.LBB5_7:
	s_and_not1_saveexec_b32 s2, s9
	s_cbranch_execz .LBB5_9
; %bb.8:
	v_cvt_f32_u32_e32 v2, s3
	s_sub_i32 s4, 0, s3
	s_delay_alu instid0(VALU_DEP_1) | instskip(SKIP_2) | instid1(VALU_DEP_1)
	v_rcp_iflag_f32_e32 v2, v2
	s_waitcnt_depctr 0xfff
	v_mul_f32_e32 v2, 0x4f7ffffe, v2
	v_cvt_u32_f32_e32 v2, v2
	s_delay_alu instid0(VALU_DEP_1) | instskip(NEXT) | instid1(VALU_DEP_1)
	v_mul_lo_u32 v3, s4, v2
	v_mul_hi_u32 v3, v2, v3
	s_delay_alu instid0(VALU_DEP_1) | instskip(NEXT) | instid1(VALU_DEP_1)
	v_add_nc_u32_e32 v2, v2, v3
	v_mul_hi_u32 v2, v6, v2
	s_delay_alu instid0(VALU_DEP_1) | instskip(SKIP_1) | instid1(VALU_DEP_2)
	v_mul_lo_u32 v3, v2, s3
	v_add_nc_u32_e32 v8, 1, v2
	v_sub_nc_u32_e32 v3, v6, v3
	s_delay_alu instid0(VALU_DEP_1) | instskip(SKIP_1) | instid1(VALU_DEP_2)
	v_subrev_nc_u32_e32 v9, s3, v3
	v_cmp_le_u32_e32 vcc_lo, s3, v3
	v_dual_cndmask_b32 v3, v3, v9 :: v_dual_cndmask_b32 v2, v2, v8
	s_delay_alu instid0(VALU_DEP_1) | instskip(NEXT) | instid1(VALU_DEP_2)
	v_cmp_le_u32_e32 vcc_lo, s3, v3
	v_dual_mov_b32 v3, 0 :: v_dual_add_nc_u32 v8, 1, v2
	s_delay_alu instid0(VALU_DEP_1)
	v_cndmask_b32_e32 v2, v2, v8, vcc_lo
.LBB5_9:
	s_or_b32 exec_lo, exec_lo, s2
	s_delay_alu instid0(VALU_DEP_1) | instskip(NEXT) | instid1(VALU_DEP_2)
	v_mul_lo_u32 v10, s8, v2
	v_mul_lo_u32 v11, s3, v3
	v_mad_u64_u32 v[8:9], null, s3, v2, 0
	s_delay_alu instid0(VALU_DEP_1) | instskip(NEXT) | instid1(VALU_DEP_2)
	v_add3_u32 v9, v9, v11, v10
	v_sub_co_u32 v12, vcc_lo, v6, v8
	v_mov_b32_e32 v6, 0
	s_delay_alu instid0(VALU_DEP_3) | instskip(NEXT) | instid1(VALU_DEP_1)
	v_sub_co_ci_u32_e32 v13, vcc_lo, v7, v9, vcc_lo
	v_or_b32_e32 v7, s23, v13
	s_delay_alu instid0(VALU_DEP_1) | instskip(SKIP_1) | instid1(SALU_CYCLE_1)
	v_cmp_ne_u64_e32 vcc_lo, 0, v[6:7]
                                        ; implicit-def: $vgpr6_vgpr7
	s_and_saveexec_b32 s2, vcc_lo
	s_xor_b32 s3, exec_lo, s2
	s_cbranch_execz .LBB5_11
; %bb.10:
	s_ashr_i32 s4, s23, 31
	s_delay_alu instid0(SALU_CYCLE_1) | instskip(SKIP_2) | instid1(SALU_CYCLE_1)
	s_add_u32 s6, s22, s4
	s_mov_b32 s5, s4
	s_addc_u32 s7, s23, s4
	s_xor_b64 s[6:7], s[6:7], s[4:5]
	s_delay_alu instid0(SALU_CYCLE_1) | instskip(SKIP_3) | instid1(VALU_DEP_1)
	v_cvt_f32_u32_e32 v6, s6
	v_cvt_f32_u32_e32 v7, s7
	s_sub_u32 s2, 0, s6
	s_subb_u32 s5, 0, s7
	v_fmamk_f32 v6, v7, 0x4f800000, v6
	s_delay_alu instid0(VALU_DEP_1) | instskip(SKIP_2) | instid1(VALU_DEP_1)
	v_rcp_f32_e32 v6, v6
	s_waitcnt_depctr 0xfff
	v_mul_f32_e32 v6, 0x5f7ffffc, v6
	v_mul_f32_e32 v7, 0x2f800000, v6
	s_delay_alu instid0(VALU_DEP_1) | instskip(NEXT) | instid1(VALU_DEP_1)
	v_trunc_f32_e32 v7, v7
	v_fmamk_f32 v6, v7, 0xcf800000, v6
	v_cvt_u32_f32_e32 v7, v7
	s_delay_alu instid0(VALU_DEP_2) | instskip(NEXT) | instid1(VALU_DEP_2)
	v_cvt_u32_f32_e32 v6, v6
	v_mul_lo_u32 v8, s2, v7
	s_delay_alu instid0(VALU_DEP_2) | instskip(SKIP_1) | instid1(VALU_DEP_2)
	v_mul_hi_u32 v9, s2, v6
	v_mul_lo_u32 v10, s5, v6
	v_add_nc_u32_e32 v8, v9, v8
	v_mul_lo_u32 v9, s2, v6
	s_delay_alu instid0(VALU_DEP_2) | instskip(NEXT) | instid1(VALU_DEP_2)
	v_add_nc_u32_e32 v8, v8, v10
	v_mul_hi_u32 v10, v6, v9
	s_delay_alu instid0(VALU_DEP_2)
	v_mul_lo_u32 v11, v6, v8
	v_mul_hi_u32 v14, v6, v8
	v_mul_hi_u32 v15, v7, v9
	v_mul_lo_u32 v9, v7, v9
	v_mul_hi_u32 v16, v7, v8
	v_mul_lo_u32 v8, v7, v8
	v_add_co_u32 v10, vcc_lo, v10, v11
	v_add_co_ci_u32_e32 v11, vcc_lo, 0, v14, vcc_lo
	s_delay_alu instid0(VALU_DEP_2) | instskip(NEXT) | instid1(VALU_DEP_2)
	v_add_co_u32 v9, vcc_lo, v10, v9
	v_add_co_ci_u32_e32 v9, vcc_lo, v11, v15, vcc_lo
	v_add_co_ci_u32_e32 v10, vcc_lo, 0, v16, vcc_lo
	v_ashrrev_i32_e32 v15, 31, v13
	s_delay_alu instid0(VALU_DEP_3) | instskip(NEXT) | instid1(VALU_DEP_3)
	v_add_co_u32 v8, vcc_lo, v9, v8
	v_add_co_ci_u32_e32 v9, vcc_lo, 0, v10, vcc_lo
	s_delay_alu instid0(VALU_DEP_2) | instskip(NEXT) | instid1(VALU_DEP_2)
	v_add_co_u32 v6, vcc_lo, v6, v8
	v_add_co_ci_u32_e32 v7, vcc_lo, v7, v9, vcc_lo
	s_delay_alu instid0(VALU_DEP_2) | instskip(SKIP_1) | instid1(VALU_DEP_3)
	v_mul_hi_u32 v8, s2, v6
	v_mul_lo_u32 v10, s5, v6
	v_mul_lo_u32 v9, s2, v7
	s_delay_alu instid0(VALU_DEP_1) | instskip(SKIP_1) | instid1(VALU_DEP_2)
	v_add_nc_u32_e32 v8, v8, v9
	v_mul_lo_u32 v9, s2, v6
	v_add_nc_u32_e32 v8, v8, v10
	s_delay_alu instid0(VALU_DEP_2) | instskip(NEXT) | instid1(VALU_DEP_2)
	v_mul_hi_u32 v10, v6, v9
	v_mul_lo_u32 v11, v6, v8
	v_mul_hi_u32 v14, v6, v8
	v_mul_hi_u32 v16, v7, v9
	v_mul_lo_u32 v9, v7, v9
	v_mul_hi_u32 v17, v7, v8
	v_mul_lo_u32 v8, v7, v8
	v_add_co_u32 v10, vcc_lo, v10, v11
	v_add_co_ci_u32_e32 v11, vcc_lo, 0, v14, vcc_lo
	s_delay_alu instid0(VALU_DEP_2) | instskip(NEXT) | instid1(VALU_DEP_2)
	v_add_co_u32 v9, vcc_lo, v10, v9
	v_add_co_ci_u32_e32 v9, vcc_lo, v11, v16, vcc_lo
	v_add_co_ci_u32_e32 v10, vcc_lo, 0, v17, vcc_lo
	v_add_co_u32 v11, vcc_lo, v12, v15
	v_add_co_ci_u32_e32 v14, vcc_lo, v13, v15, vcc_lo
	s_delay_alu instid0(VALU_DEP_4) | instskip(NEXT) | instid1(VALU_DEP_4)
	v_add_co_u32 v8, vcc_lo, v9, v8
	v_add_co_ci_u32_e32 v9, vcc_lo, 0, v10, vcc_lo
	s_delay_alu instid0(VALU_DEP_4) | instskip(NEXT) | instid1(VALU_DEP_3)
	v_xor_b32_e32 v16, v11, v15
	v_add_co_u32 v10, vcc_lo, v6, v8
	s_delay_alu instid0(VALU_DEP_3) | instskip(SKIP_1) | instid1(VALU_DEP_3)
	v_add_co_ci_u32_e32 v17, vcc_lo, v7, v9, vcc_lo
	v_xor_b32_e32 v14, v14, v15
	v_mul_hi_u32 v18, v16, v10
	s_delay_alu instid0(VALU_DEP_3) | instskip(NEXT) | instid1(VALU_DEP_3)
	v_mad_u64_u32 v[6:7], null, v16, v17, 0
	v_mad_u64_u32 v[8:9], null, v14, v10, 0
	;; [unrolled: 1-line block ×3, first 2 shown]
	s_delay_alu instid0(VALU_DEP_3) | instskip(NEXT) | instid1(VALU_DEP_4)
	v_add_co_u32 v6, vcc_lo, v18, v6
	v_add_co_ci_u32_e32 v7, vcc_lo, 0, v7, vcc_lo
	s_delay_alu instid0(VALU_DEP_2) | instskip(NEXT) | instid1(VALU_DEP_2)
	v_add_co_u32 v6, vcc_lo, v6, v8
	v_add_co_ci_u32_e32 v6, vcc_lo, v7, v9, vcc_lo
	v_add_co_ci_u32_e32 v7, vcc_lo, 0, v11, vcc_lo
	s_delay_alu instid0(VALU_DEP_2) | instskip(NEXT) | instid1(VALU_DEP_2)
	v_add_co_u32 v8, vcc_lo, v6, v10
	v_add_co_ci_u32_e32 v9, vcc_lo, 0, v7, vcc_lo
	s_delay_alu instid0(VALU_DEP_2) | instskip(SKIP_1) | instid1(VALU_DEP_3)
	v_mul_lo_u32 v10, s7, v8
	v_mad_u64_u32 v[6:7], null, s6, v8, 0
	v_mul_lo_u32 v11, s6, v9
	s_delay_alu instid0(VALU_DEP_2) | instskip(NEXT) | instid1(VALU_DEP_2)
	v_sub_co_u32 v6, vcc_lo, v16, v6
	v_add3_u32 v7, v7, v11, v10
	s_delay_alu instid0(VALU_DEP_1) | instskip(NEXT) | instid1(VALU_DEP_1)
	v_sub_nc_u32_e32 v10, v14, v7
	v_subrev_co_ci_u32_e64 v10, s2, s7, v10, vcc_lo
	v_add_co_u32 v11, s2, v8, 2
	s_delay_alu instid0(VALU_DEP_1) | instskip(SKIP_3) | instid1(VALU_DEP_3)
	v_add_co_ci_u32_e64 v16, s2, 0, v9, s2
	v_sub_co_u32 v17, s2, v6, s6
	v_sub_co_ci_u32_e32 v7, vcc_lo, v14, v7, vcc_lo
	v_subrev_co_ci_u32_e64 v10, s2, 0, v10, s2
	v_cmp_le_u32_e32 vcc_lo, s6, v17
	s_delay_alu instid0(VALU_DEP_3) | instskip(SKIP_1) | instid1(VALU_DEP_4)
	v_cmp_eq_u32_e64 s2, s7, v7
	v_cndmask_b32_e64 v14, 0, -1, vcc_lo
	v_cmp_le_u32_e32 vcc_lo, s7, v10
	v_cndmask_b32_e64 v17, 0, -1, vcc_lo
	v_cmp_le_u32_e32 vcc_lo, s6, v6
	;; [unrolled: 2-line block ×3, first 2 shown]
	v_cndmask_b32_e64 v18, 0, -1, vcc_lo
	v_cmp_eq_u32_e32 vcc_lo, s7, v10
	s_delay_alu instid0(VALU_DEP_2) | instskip(SKIP_3) | instid1(VALU_DEP_3)
	v_cndmask_b32_e64 v6, v18, v6, s2
	v_cndmask_b32_e32 v10, v17, v14, vcc_lo
	v_add_co_u32 v14, vcc_lo, v8, 1
	v_add_co_ci_u32_e32 v17, vcc_lo, 0, v9, vcc_lo
	v_cmp_ne_u32_e32 vcc_lo, 0, v10
	s_delay_alu instid0(VALU_DEP_2) | instskip(SKIP_2) | instid1(VALU_DEP_3)
	v_dual_cndmask_b32 v7, v17, v16 :: v_dual_cndmask_b32 v10, v14, v11
	v_cmp_ne_u32_e32 vcc_lo, 0, v6
	v_xor_b32_e32 v11, s4, v15
	v_dual_cndmask_b32 v6, v9, v7 :: v_dual_cndmask_b32 v7, v8, v10
	s_delay_alu instid0(VALU_DEP_1) | instskip(NEXT) | instid1(VALU_DEP_2)
	v_xor_b32_e32 v8, v6, v11
	v_xor_b32_e32 v7, v7, v11
	s_delay_alu instid0(VALU_DEP_1) | instskip(NEXT) | instid1(VALU_DEP_3)
	v_sub_co_u32 v6, vcc_lo, v7, v11
	v_sub_co_ci_u32_e32 v7, vcc_lo, v8, v11, vcc_lo
.LBB5_11:
	s_and_not1_saveexec_b32 s2, s3
	s_cbranch_execz .LBB5_13
; %bb.12:
	v_cvt_f32_u32_e32 v6, s22
	s_sub_i32 s3, 0, s22
	s_delay_alu instid0(VALU_DEP_1) | instskip(SKIP_2) | instid1(VALU_DEP_1)
	v_rcp_iflag_f32_e32 v6, v6
	s_waitcnt_depctr 0xfff
	v_mul_f32_e32 v6, 0x4f7ffffe, v6
	v_cvt_u32_f32_e32 v6, v6
	s_delay_alu instid0(VALU_DEP_1) | instskip(NEXT) | instid1(VALU_DEP_1)
	v_mul_lo_u32 v7, s3, v6
	v_mul_hi_u32 v7, v6, v7
	s_delay_alu instid0(VALU_DEP_1) | instskip(NEXT) | instid1(VALU_DEP_1)
	v_add_nc_u32_e32 v6, v6, v7
	v_mul_hi_u32 v6, v12, v6
	s_delay_alu instid0(VALU_DEP_1) | instskip(SKIP_1) | instid1(VALU_DEP_2)
	v_mul_lo_u32 v7, v6, s22
	v_add_nc_u32_e32 v8, 1, v6
	v_sub_nc_u32_e32 v7, v12, v7
	s_delay_alu instid0(VALU_DEP_1) | instskip(SKIP_1) | instid1(VALU_DEP_2)
	v_subrev_nc_u32_e32 v9, s22, v7
	v_cmp_le_u32_e32 vcc_lo, s22, v7
	v_dual_cndmask_b32 v7, v7, v9 :: v_dual_cndmask_b32 v6, v6, v8
	s_delay_alu instid0(VALU_DEP_1) | instskip(NEXT) | instid1(VALU_DEP_2)
	v_cmp_le_u32_e32 vcc_lo, s22, v7
	v_dual_mov_b32 v7, 0 :: v_dual_add_nc_u32 v8, 1, v6
	s_delay_alu instid0(VALU_DEP_1)
	v_cndmask_b32_e32 v6, v6, v8, vcc_lo
.LBB5_13:
	s_or_b32 exec_lo, exec_lo, s2
	s_load_b512 s[36:51], s[0:1], 0x40
	v_mov_b32_e32 v8, 0
	s_waitcnt lgkmcnt(0)
	s_mul_i32 s2, s42, s41
	s_mul_hi_u32 s4, s42, s40
	s_mul_i32 s5, s43, s40
	s_mul_i32 s3, s42, s40
	s_add_i32 s8, s4, s2
	s_mul_i32 s2, s3, s45
	s_mul_hi_u32 s4, s3, s44
	s_add_i32 s8, s8, s5
	s_add_i32 s2, s4, s2
	s_mul_i32 s4, s8, s44
	s_mul_i32 s10, s3, s44
	s_add_i32 s9, s2, s4
	s_delay_alu instid0(SALU_CYCLE_1) | instskip(NEXT) | instid1(VALU_DEP_1)
	v_or_b32_e32 v9, s9, v5
	v_cmp_ne_u64_e32 vcc_lo, 0, v[8:9]
                                        ; implicit-def: $vgpr8_vgpr9
	s_and_saveexec_b32 s2, vcc_lo
	s_delay_alu instid0(SALU_CYCLE_1)
	s_xor_b32 s11, exec_lo, s2
	s_cbranch_execz .LBB5_15
; %bb.14:
	s_ashr_i32 s4, s9, 31
	s_delay_alu instid0(SALU_CYCLE_1) | instskip(SKIP_2) | instid1(SALU_CYCLE_1)
	s_add_u32 s6, s10, s4
	s_mov_b32 s5, s4
	s_addc_u32 s7, s9, s4
	s_xor_b64 s[6:7], s[6:7], s[4:5]
	s_delay_alu instid0(SALU_CYCLE_1) | instskip(SKIP_3) | instid1(VALU_DEP_1)
	v_cvt_f32_u32_e32 v8, s6
	v_cvt_f32_u32_e32 v9, s7
	s_sub_u32 s2, 0, s6
	s_subb_u32 s5, 0, s7
	v_fmamk_f32 v8, v9, 0x4f800000, v8
	s_delay_alu instid0(VALU_DEP_1) | instskip(SKIP_2) | instid1(VALU_DEP_1)
	v_rcp_f32_e32 v8, v8
	s_waitcnt_depctr 0xfff
	v_mul_f32_e32 v8, 0x5f7ffffc, v8
	v_mul_f32_e32 v9, 0x2f800000, v8
	s_delay_alu instid0(VALU_DEP_1) | instskip(NEXT) | instid1(VALU_DEP_1)
	v_trunc_f32_e32 v9, v9
	v_fmamk_f32 v8, v9, 0xcf800000, v8
	v_cvt_u32_f32_e32 v9, v9
	s_delay_alu instid0(VALU_DEP_2) | instskip(NEXT) | instid1(VALU_DEP_2)
	v_cvt_u32_f32_e32 v8, v8
	v_mul_lo_u32 v10, s2, v9
	s_delay_alu instid0(VALU_DEP_2) | instskip(SKIP_1) | instid1(VALU_DEP_2)
	v_mul_hi_u32 v11, s2, v8
	v_mul_lo_u32 v14, s5, v8
	v_add_nc_u32_e32 v10, v11, v10
	v_mul_lo_u32 v11, s2, v8
	s_delay_alu instid0(VALU_DEP_2) | instskip(NEXT) | instid1(VALU_DEP_2)
	v_add_nc_u32_e32 v10, v10, v14
	v_mul_hi_u32 v14, v8, v11
	s_delay_alu instid0(VALU_DEP_2)
	v_mul_lo_u32 v15, v8, v10
	v_mul_hi_u32 v16, v8, v10
	v_mul_hi_u32 v17, v9, v11
	v_mul_lo_u32 v11, v9, v11
	v_mul_hi_u32 v18, v9, v10
	v_mul_lo_u32 v10, v9, v10
	v_add_co_u32 v14, vcc_lo, v14, v15
	v_add_co_ci_u32_e32 v15, vcc_lo, 0, v16, vcc_lo
	s_delay_alu instid0(VALU_DEP_2) | instskip(NEXT) | instid1(VALU_DEP_2)
	v_add_co_u32 v11, vcc_lo, v14, v11
	v_add_co_ci_u32_e32 v11, vcc_lo, v15, v17, vcc_lo
	v_add_co_ci_u32_e32 v14, vcc_lo, 0, v18, vcc_lo
	s_delay_alu instid0(VALU_DEP_2) | instskip(NEXT) | instid1(VALU_DEP_2)
	v_add_co_u32 v10, vcc_lo, v11, v10
	v_add_co_ci_u32_e32 v11, vcc_lo, 0, v14, vcc_lo
	s_delay_alu instid0(VALU_DEP_2) | instskip(NEXT) | instid1(VALU_DEP_2)
	v_add_co_u32 v8, vcc_lo, v8, v10
	v_add_co_ci_u32_e32 v9, vcc_lo, v9, v11, vcc_lo
	s_delay_alu instid0(VALU_DEP_2) | instskip(SKIP_1) | instid1(VALU_DEP_3)
	v_mul_hi_u32 v10, s2, v8
	v_mul_lo_u32 v14, s5, v8
	v_mul_lo_u32 v11, s2, v9
	s_delay_alu instid0(VALU_DEP_1) | instskip(SKIP_1) | instid1(VALU_DEP_2)
	v_add_nc_u32_e32 v10, v10, v11
	v_mul_lo_u32 v11, s2, v8
	v_add_nc_u32_e32 v10, v10, v14
	s_delay_alu instid0(VALU_DEP_2) | instskip(NEXT) | instid1(VALU_DEP_2)
	v_mul_hi_u32 v14, v8, v11
	v_mul_lo_u32 v15, v8, v10
	v_mul_hi_u32 v16, v8, v10
	v_mul_hi_u32 v17, v9, v11
	v_mul_lo_u32 v11, v9, v11
	v_mul_hi_u32 v18, v9, v10
	v_mul_lo_u32 v10, v9, v10
	v_add_co_u32 v14, vcc_lo, v14, v15
	v_add_co_ci_u32_e32 v15, vcc_lo, 0, v16, vcc_lo
	s_delay_alu instid0(VALU_DEP_2) | instskip(NEXT) | instid1(VALU_DEP_2)
	v_add_co_u32 v11, vcc_lo, v14, v11
	v_add_co_ci_u32_e32 v11, vcc_lo, v15, v17, vcc_lo
	v_add_co_ci_u32_e32 v14, vcc_lo, 0, v18, vcc_lo
	s_delay_alu instid0(VALU_DEP_2) | instskip(NEXT) | instid1(VALU_DEP_2)
	v_add_co_u32 v10, vcc_lo, v11, v10
	v_add_co_ci_u32_e32 v11, vcc_lo, 0, v14, vcc_lo
	s_delay_alu instid0(VALU_DEP_2) | instskip(NEXT) | instid1(VALU_DEP_2)
	v_add_co_u32 v14, vcc_lo, v8, v10
	v_add_co_ci_u32_e32 v16, vcc_lo, v9, v11, vcc_lo
	s_delay_alu instid0(VALU_DEP_2) | instskip(SKIP_1) | instid1(VALU_DEP_3)
	v_mul_hi_u32 v17, v4, v14
	v_mad_u64_u32 v[10:11], null, v5, v14, 0
	v_mad_u64_u32 v[8:9], null, v4, v16, 0
	;; [unrolled: 1-line block ×3, first 2 shown]
	s_delay_alu instid0(VALU_DEP_2) | instskip(NEXT) | instid1(VALU_DEP_3)
	v_add_co_u32 v8, vcc_lo, v17, v8
	v_add_co_ci_u32_e32 v9, vcc_lo, 0, v9, vcc_lo
	s_delay_alu instid0(VALU_DEP_2) | instskip(NEXT) | instid1(VALU_DEP_2)
	v_add_co_u32 v8, vcc_lo, v8, v10
	v_add_co_ci_u32_e32 v8, vcc_lo, v9, v11, vcc_lo
	v_add_co_ci_u32_e32 v9, vcc_lo, 0, v15, vcc_lo
	s_delay_alu instid0(VALU_DEP_2) | instskip(NEXT) | instid1(VALU_DEP_2)
	v_add_co_u32 v10, vcc_lo, v8, v14
	v_add_co_ci_u32_e32 v11, vcc_lo, 0, v9, vcc_lo
	s_delay_alu instid0(VALU_DEP_2) | instskip(SKIP_1) | instid1(VALU_DEP_3)
	v_mul_lo_u32 v14, s7, v10
	v_mad_u64_u32 v[8:9], null, s6, v10, 0
	v_mul_lo_u32 v15, s6, v11
	s_delay_alu instid0(VALU_DEP_2) | instskip(NEXT) | instid1(VALU_DEP_2)
	v_sub_co_u32 v8, vcc_lo, v4, v8
	v_add3_u32 v9, v9, v15, v14
	s_delay_alu instid0(VALU_DEP_1) | instskip(NEXT) | instid1(VALU_DEP_1)
	v_sub_nc_u32_e32 v14, v5, v9
	v_subrev_co_ci_u32_e64 v14, s2, s7, v14, vcc_lo
	v_add_co_u32 v15, s2, v10, 2
	s_delay_alu instid0(VALU_DEP_1) | instskip(SKIP_3) | instid1(VALU_DEP_3)
	v_add_co_ci_u32_e64 v16, s2, 0, v11, s2
	v_sub_co_u32 v17, s2, v8, s6
	v_sub_co_ci_u32_e32 v9, vcc_lo, v5, v9, vcc_lo
	v_subrev_co_ci_u32_e64 v14, s2, 0, v14, s2
	v_cmp_le_u32_e32 vcc_lo, s6, v17
	s_delay_alu instid0(VALU_DEP_3) | instskip(SKIP_1) | instid1(VALU_DEP_4)
	v_cmp_eq_u32_e64 s2, s7, v9
	v_cndmask_b32_e64 v17, 0, -1, vcc_lo
	v_cmp_le_u32_e32 vcc_lo, s7, v14
	v_cndmask_b32_e64 v18, 0, -1, vcc_lo
	v_cmp_le_u32_e32 vcc_lo, s6, v8
	v_cndmask_b32_e64 v8, 0, -1, vcc_lo
	v_cmp_le_u32_e32 vcc_lo, s7, v9
	v_cndmask_b32_e64 v19, 0, -1, vcc_lo
	v_cmp_eq_u32_e32 vcc_lo, s7, v14
	s_delay_alu instid0(VALU_DEP_2) | instskip(SKIP_3) | instid1(VALU_DEP_3)
	v_cndmask_b32_e64 v8, v19, v8, s2
	v_cndmask_b32_e32 v14, v18, v17, vcc_lo
	v_add_co_u32 v17, vcc_lo, v10, 1
	v_add_co_ci_u32_e32 v18, vcc_lo, 0, v11, vcc_lo
	v_cmp_ne_u32_e32 vcc_lo, 0, v14
	s_delay_alu instid0(VALU_DEP_2) | instskip(SKIP_1) | instid1(VALU_DEP_2)
	v_dual_cndmask_b32 v9, v18, v16 :: v_dual_cndmask_b32 v14, v17, v15
	v_cmp_ne_u32_e32 vcc_lo, 0, v8
	v_dual_cndmask_b32 v8, v11, v9 :: v_dual_cndmask_b32 v9, v10, v14
	s_delay_alu instid0(VALU_DEP_1) | instskip(NEXT) | instid1(VALU_DEP_2)
	v_xor_b32_e32 v10, s4, v8
	v_xor_b32_e32 v9, s4, v9
	s_delay_alu instid0(VALU_DEP_1) | instskip(NEXT) | instid1(VALU_DEP_3)
	v_sub_co_u32 v8, vcc_lo, v9, s4
	v_subrev_co_ci_u32_e32 v9, vcc_lo, s4, v10, vcc_lo
.LBB5_15:
	s_and_not1_saveexec_b32 s2, s11
	s_cbranch_execz .LBB5_17
; %bb.16:
	v_cvt_f32_u32_e32 v8, s10
	s_sub_i32 s4, 0, s10
	s_delay_alu instid0(VALU_DEP_1) | instskip(SKIP_2) | instid1(VALU_DEP_1)
	v_rcp_iflag_f32_e32 v8, v8
	s_waitcnt_depctr 0xfff
	v_mul_f32_e32 v8, 0x4f7ffffe, v8
	v_cvt_u32_f32_e32 v8, v8
	s_delay_alu instid0(VALU_DEP_1) | instskip(NEXT) | instid1(VALU_DEP_1)
	v_mul_lo_u32 v9, s4, v8
	v_mul_hi_u32 v9, v8, v9
	s_delay_alu instid0(VALU_DEP_1) | instskip(NEXT) | instid1(VALU_DEP_1)
	v_add_nc_u32_e32 v8, v8, v9
	v_mul_hi_u32 v8, v4, v8
	s_delay_alu instid0(VALU_DEP_1) | instskip(SKIP_1) | instid1(VALU_DEP_2)
	v_mul_lo_u32 v9, v8, s10
	v_add_nc_u32_e32 v10, 1, v8
	v_sub_nc_u32_e32 v9, v4, v9
	s_delay_alu instid0(VALU_DEP_1) | instskip(SKIP_1) | instid1(VALU_DEP_2)
	v_subrev_nc_u32_e32 v11, s10, v9
	v_cmp_le_u32_e32 vcc_lo, s10, v9
	v_dual_cndmask_b32 v9, v9, v11 :: v_dual_cndmask_b32 v8, v8, v10
	s_delay_alu instid0(VALU_DEP_1) | instskip(NEXT) | instid1(VALU_DEP_2)
	v_cmp_le_u32_e32 vcc_lo, s10, v9
	v_dual_mov_b32 v9, 0 :: v_dual_add_nc_u32 v10, 1, v8
	s_delay_alu instid0(VALU_DEP_1)
	v_cndmask_b32_e32 v8, v8, v10, vcc_lo
.LBB5_17:
	s_or_b32 exec_lo, exec_lo, s2
	s_delay_alu instid0(VALU_DEP_1) | instskip(NEXT) | instid1(VALU_DEP_2)
	v_mul_lo_u32 v14, s9, v8
	v_mul_lo_u32 v15, s10, v9
	v_mad_u64_u32 v[10:11], null, s10, v8, 0
	s_delay_alu instid0(VALU_DEP_1) | instskip(NEXT) | instid1(VALU_DEP_2)
	v_add3_u32 v11, v11, v15, v14
	v_sub_co_u32 v10, vcc_lo, v4, v10
	v_mov_b32_e32 v4, 0
	s_delay_alu instid0(VALU_DEP_3) | instskip(NEXT) | instid1(VALU_DEP_1)
	v_sub_co_ci_u32_e32 v11, vcc_lo, v5, v11, vcc_lo
	v_or_b32_e32 v5, s8, v11
	s_delay_alu instid0(VALU_DEP_1) | instskip(SKIP_1) | instid1(SALU_CYCLE_1)
	v_cmp_ne_u64_e32 vcc_lo, 0, v[4:5]
                                        ; implicit-def: $vgpr4_vgpr5
	s_and_saveexec_b32 s2, vcc_lo
	s_xor_b32 s9, exec_lo, s2
	s_cbranch_execz .LBB5_19
; %bb.18:
	s_ashr_i32 s4, s8, 31
	s_delay_alu instid0(SALU_CYCLE_1) | instskip(SKIP_2) | instid1(SALU_CYCLE_1)
	s_add_u32 s6, s3, s4
	s_mov_b32 s5, s4
	s_addc_u32 s7, s8, s4
	s_xor_b64 s[6:7], s[6:7], s[4:5]
	s_delay_alu instid0(SALU_CYCLE_1) | instskip(SKIP_3) | instid1(VALU_DEP_1)
	v_cvt_f32_u32_e32 v4, s6
	v_cvt_f32_u32_e32 v5, s7
	s_sub_u32 s2, 0, s6
	s_subb_u32 s5, 0, s7
	v_fmamk_f32 v4, v5, 0x4f800000, v4
	s_delay_alu instid0(VALU_DEP_1) | instskip(SKIP_2) | instid1(VALU_DEP_1)
	v_rcp_f32_e32 v4, v4
	s_waitcnt_depctr 0xfff
	v_mul_f32_e32 v4, 0x5f7ffffc, v4
	v_mul_f32_e32 v5, 0x2f800000, v4
	s_delay_alu instid0(VALU_DEP_1) | instskip(NEXT) | instid1(VALU_DEP_1)
	v_trunc_f32_e32 v5, v5
	v_fmamk_f32 v4, v5, 0xcf800000, v4
	v_cvt_u32_f32_e32 v5, v5
	s_delay_alu instid0(VALU_DEP_2) | instskip(NEXT) | instid1(VALU_DEP_2)
	v_cvt_u32_f32_e32 v4, v4
	v_mul_lo_u32 v14, s2, v5
	s_delay_alu instid0(VALU_DEP_2) | instskip(SKIP_1) | instid1(VALU_DEP_2)
	v_mul_hi_u32 v15, s2, v4
	v_mul_lo_u32 v16, s5, v4
	v_add_nc_u32_e32 v14, v15, v14
	v_mul_lo_u32 v15, s2, v4
	s_delay_alu instid0(VALU_DEP_2) | instskip(NEXT) | instid1(VALU_DEP_2)
	v_add_nc_u32_e32 v14, v14, v16
	v_mul_hi_u32 v16, v4, v15
	s_delay_alu instid0(VALU_DEP_2)
	v_mul_lo_u32 v17, v4, v14
	v_mul_hi_u32 v18, v4, v14
	v_mul_hi_u32 v19, v5, v15
	v_mul_lo_u32 v15, v5, v15
	v_mul_hi_u32 v20, v5, v14
	v_mul_lo_u32 v14, v5, v14
	v_add_co_u32 v16, vcc_lo, v16, v17
	v_add_co_ci_u32_e32 v17, vcc_lo, 0, v18, vcc_lo
	s_delay_alu instid0(VALU_DEP_2) | instskip(NEXT) | instid1(VALU_DEP_2)
	v_add_co_u32 v15, vcc_lo, v16, v15
	v_add_co_ci_u32_e32 v15, vcc_lo, v17, v19, vcc_lo
	v_add_co_ci_u32_e32 v16, vcc_lo, 0, v20, vcc_lo
	v_ashrrev_i32_e32 v19, 31, v11
	s_delay_alu instid0(VALU_DEP_3) | instskip(NEXT) | instid1(VALU_DEP_3)
	v_add_co_u32 v14, vcc_lo, v15, v14
	v_add_co_ci_u32_e32 v15, vcc_lo, 0, v16, vcc_lo
	s_delay_alu instid0(VALU_DEP_2) | instskip(NEXT) | instid1(VALU_DEP_2)
	v_add_co_u32 v4, vcc_lo, v4, v14
	v_add_co_ci_u32_e32 v5, vcc_lo, v5, v15, vcc_lo
	s_delay_alu instid0(VALU_DEP_2) | instskip(SKIP_1) | instid1(VALU_DEP_3)
	v_mul_hi_u32 v14, s2, v4
	v_mul_lo_u32 v16, s5, v4
	v_mul_lo_u32 v15, s2, v5
	s_delay_alu instid0(VALU_DEP_1) | instskip(SKIP_1) | instid1(VALU_DEP_2)
	v_add_nc_u32_e32 v14, v14, v15
	v_mul_lo_u32 v15, s2, v4
	v_add_nc_u32_e32 v14, v14, v16
	s_delay_alu instid0(VALU_DEP_2) | instskip(NEXT) | instid1(VALU_DEP_2)
	v_mul_hi_u32 v16, v4, v15
	v_mul_lo_u32 v17, v4, v14
	v_mul_hi_u32 v18, v4, v14
	v_mul_hi_u32 v20, v5, v15
	v_mul_lo_u32 v15, v5, v15
	v_mul_hi_u32 v21, v5, v14
	v_mul_lo_u32 v14, v5, v14
	v_add_co_u32 v16, vcc_lo, v16, v17
	v_add_co_ci_u32_e32 v17, vcc_lo, 0, v18, vcc_lo
	s_delay_alu instid0(VALU_DEP_2) | instskip(NEXT) | instid1(VALU_DEP_2)
	v_add_co_u32 v15, vcc_lo, v16, v15
	v_add_co_ci_u32_e32 v15, vcc_lo, v17, v20, vcc_lo
	v_add_co_ci_u32_e32 v16, vcc_lo, 0, v21, vcc_lo
	v_add_co_u32 v17, vcc_lo, v10, v19
	v_add_co_ci_u32_e32 v18, vcc_lo, v11, v19, vcc_lo
	s_delay_alu instid0(VALU_DEP_4) | instskip(NEXT) | instid1(VALU_DEP_4)
	v_add_co_u32 v14, vcc_lo, v15, v14
	v_add_co_ci_u32_e32 v15, vcc_lo, 0, v16, vcc_lo
	s_delay_alu instid0(VALU_DEP_4) | instskip(NEXT) | instid1(VALU_DEP_3)
	v_xor_b32_e32 v20, v17, v19
	v_add_co_u32 v16, vcc_lo, v4, v14
	s_delay_alu instid0(VALU_DEP_3) | instskip(SKIP_1) | instid1(VALU_DEP_3)
	v_add_co_ci_u32_e32 v21, vcc_lo, v5, v15, vcc_lo
	v_xor_b32_e32 v18, v18, v19
	v_mul_hi_u32 v22, v20, v16
	s_delay_alu instid0(VALU_DEP_3) | instskip(NEXT) | instid1(VALU_DEP_3)
	v_mad_u64_u32 v[4:5], null, v20, v21, 0
	v_mad_u64_u32 v[14:15], null, v18, v16, 0
	;; [unrolled: 1-line block ×3, first 2 shown]
	s_delay_alu instid0(VALU_DEP_3) | instskip(NEXT) | instid1(VALU_DEP_4)
	v_add_co_u32 v4, vcc_lo, v22, v4
	v_add_co_ci_u32_e32 v5, vcc_lo, 0, v5, vcc_lo
	s_delay_alu instid0(VALU_DEP_2) | instskip(NEXT) | instid1(VALU_DEP_2)
	v_add_co_u32 v4, vcc_lo, v4, v14
	v_add_co_ci_u32_e32 v4, vcc_lo, v5, v15, vcc_lo
	v_add_co_ci_u32_e32 v5, vcc_lo, 0, v17, vcc_lo
	s_delay_alu instid0(VALU_DEP_2) | instskip(NEXT) | instid1(VALU_DEP_2)
	v_add_co_u32 v14, vcc_lo, v4, v16
	v_add_co_ci_u32_e32 v15, vcc_lo, 0, v5, vcc_lo
	s_delay_alu instid0(VALU_DEP_2) | instskip(SKIP_1) | instid1(VALU_DEP_3)
	v_mul_lo_u32 v16, s7, v14
	v_mad_u64_u32 v[4:5], null, s6, v14, 0
	v_mul_lo_u32 v17, s6, v15
	s_delay_alu instid0(VALU_DEP_2) | instskip(NEXT) | instid1(VALU_DEP_2)
	v_sub_co_u32 v4, vcc_lo, v20, v4
	v_add3_u32 v5, v5, v17, v16
	s_delay_alu instid0(VALU_DEP_1) | instskip(NEXT) | instid1(VALU_DEP_1)
	v_sub_nc_u32_e32 v16, v18, v5
	v_subrev_co_ci_u32_e64 v16, s2, s7, v16, vcc_lo
	v_add_co_u32 v17, s2, v14, 2
	s_delay_alu instid0(VALU_DEP_1) | instskip(SKIP_3) | instid1(VALU_DEP_3)
	v_add_co_ci_u32_e64 v20, s2, 0, v15, s2
	v_sub_co_u32 v21, s2, v4, s6
	v_sub_co_ci_u32_e32 v5, vcc_lo, v18, v5, vcc_lo
	v_subrev_co_ci_u32_e64 v16, s2, 0, v16, s2
	v_cmp_le_u32_e32 vcc_lo, s6, v21
	s_delay_alu instid0(VALU_DEP_3) | instskip(SKIP_1) | instid1(VALU_DEP_4)
	v_cmp_eq_u32_e64 s2, s7, v5
	v_cndmask_b32_e64 v18, 0, -1, vcc_lo
	v_cmp_le_u32_e32 vcc_lo, s7, v16
	v_cndmask_b32_e64 v21, 0, -1, vcc_lo
	v_cmp_le_u32_e32 vcc_lo, s6, v4
	;; [unrolled: 2-line block ×3, first 2 shown]
	v_cndmask_b32_e64 v22, 0, -1, vcc_lo
	v_cmp_eq_u32_e32 vcc_lo, s7, v16
	s_delay_alu instid0(VALU_DEP_2) | instskip(SKIP_3) | instid1(VALU_DEP_3)
	v_cndmask_b32_e64 v4, v22, v4, s2
	v_cndmask_b32_e32 v16, v21, v18, vcc_lo
	v_add_co_u32 v18, vcc_lo, v14, 1
	v_add_co_ci_u32_e32 v21, vcc_lo, 0, v15, vcc_lo
	v_cmp_ne_u32_e32 vcc_lo, 0, v16
	s_delay_alu instid0(VALU_DEP_2) | instskip(SKIP_2) | instid1(VALU_DEP_3)
	v_dual_cndmask_b32 v5, v21, v20 :: v_dual_cndmask_b32 v16, v18, v17
	v_cmp_ne_u32_e32 vcc_lo, 0, v4
	v_xor_b32_e32 v17, s4, v19
	v_dual_cndmask_b32 v4, v15, v5 :: v_dual_cndmask_b32 v5, v14, v16
	s_delay_alu instid0(VALU_DEP_1) | instskip(NEXT) | instid1(VALU_DEP_2)
	v_xor_b32_e32 v14, v4, v17
	v_xor_b32_e32 v5, v5, v17
	s_delay_alu instid0(VALU_DEP_1) | instskip(NEXT) | instid1(VALU_DEP_3)
	v_sub_co_u32 v4, vcc_lo, v5, v17
	v_sub_co_ci_u32_e32 v5, vcc_lo, v14, v17, vcc_lo
.LBB5_19:
	s_and_not1_saveexec_b32 s2, s9
	s_cbranch_execz .LBB5_21
; %bb.20:
	v_cvt_f32_u32_e32 v4, s3
	s_sub_i32 s4, 0, s3
	s_delay_alu instid0(VALU_DEP_1) | instskip(SKIP_2) | instid1(VALU_DEP_1)
	v_rcp_iflag_f32_e32 v4, v4
	s_waitcnt_depctr 0xfff
	v_mul_f32_e32 v4, 0x4f7ffffe, v4
	v_cvt_u32_f32_e32 v4, v4
	s_delay_alu instid0(VALU_DEP_1) | instskip(NEXT) | instid1(VALU_DEP_1)
	v_mul_lo_u32 v5, s4, v4
	v_mul_hi_u32 v5, v4, v5
	s_delay_alu instid0(VALU_DEP_1) | instskip(NEXT) | instid1(VALU_DEP_1)
	v_add_nc_u32_e32 v4, v4, v5
	v_mul_hi_u32 v4, v10, v4
	s_delay_alu instid0(VALU_DEP_1) | instskip(SKIP_1) | instid1(VALU_DEP_2)
	v_mul_lo_u32 v5, v4, s3
	v_add_nc_u32_e32 v14, 1, v4
	v_sub_nc_u32_e32 v5, v10, v5
	s_delay_alu instid0(VALU_DEP_1) | instskip(SKIP_1) | instid1(VALU_DEP_2)
	v_subrev_nc_u32_e32 v15, s3, v5
	v_cmp_le_u32_e32 vcc_lo, s3, v5
	v_dual_cndmask_b32 v5, v5, v15 :: v_dual_cndmask_b32 v4, v4, v14
	s_delay_alu instid0(VALU_DEP_1) | instskip(NEXT) | instid1(VALU_DEP_2)
	v_cmp_le_u32_e32 vcc_lo, s3, v5
	v_dual_mov_b32 v5, 0 :: v_dual_add_nc_u32 v14, 1, v4
	s_delay_alu instid0(VALU_DEP_1)
	v_cndmask_b32_e32 v4, v4, v14, vcc_lo
.LBB5_21:
	s_or_b32 exec_lo, exec_lo, s2
	s_delay_alu instid0(VALU_DEP_1) | instskip(NEXT) | instid1(VALU_DEP_2)
	v_mul_lo_u32 v16, s8, v4
	v_mul_lo_u32 v17, s3, v5
	v_mad_u64_u32 v[14:15], null, s3, v4, 0
	s_delay_alu instid0(VALU_DEP_1) | instskip(NEXT) | instid1(VALU_DEP_2)
	v_add3_u32 v15, v15, v17, v16
	v_sub_co_u32 v14, vcc_lo, v10, v14
	v_mov_b32_e32 v10, 0
	s_delay_alu instid0(VALU_DEP_3) | instskip(NEXT) | instid1(VALU_DEP_1)
	v_sub_co_ci_u32_e32 v15, vcc_lo, v11, v15, vcc_lo
	v_or_b32_e32 v11, s41, v15
	s_delay_alu instid0(VALU_DEP_1) | instskip(SKIP_1) | instid1(SALU_CYCLE_1)
	v_cmp_ne_u64_e32 vcc_lo, 0, v[10:11]
                                        ; implicit-def: $vgpr10_vgpr11
	s_and_saveexec_b32 s2, vcc_lo
	s_xor_b32 s3, exec_lo, s2
	s_cbranch_execz .LBB5_23
; %bb.22:
	s_ashr_i32 s4, s41, 31
	s_delay_alu instid0(SALU_CYCLE_1) | instskip(SKIP_2) | instid1(SALU_CYCLE_1)
	s_add_u32 s6, s40, s4
	s_mov_b32 s5, s4
	s_addc_u32 s7, s41, s4
	s_xor_b64 s[6:7], s[6:7], s[4:5]
	s_delay_alu instid0(SALU_CYCLE_1) | instskip(SKIP_3) | instid1(VALU_DEP_1)
	v_cvt_f32_u32_e32 v10, s6
	v_cvt_f32_u32_e32 v11, s7
	s_sub_u32 s2, 0, s6
	s_subb_u32 s5, 0, s7
	v_fmamk_f32 v10, v11, 0x4f800000, v10
	s_delay_alu instid0(VALU_DEP_1) | instskip(SKIP_2) | instid1(VALU_DEP_1)
	v_rcp_f32_e32 v10, v10
	s_waitcnt_depctr 0xfff
	v_mul_f32_e32 v10, 0x5f7ffffc, v10
	v_mul_f32_e32 v11, 0x2f800000, v10
	s_delay_alu instid0(VALU_DEP_1) | instskip(NEXT) | instid1(VALU_DEP_1)
	v_trunc_f32_e32 v11, v11
	v_fmamk_f32 v10, v11, 0xcf800000, v10
	v_cvt_u32_f32_e32 v11, v11
	s_delay_alu instid0(VALU_DEP_2) | instskip(NEXT) | instid1(VALU_DEP_2)
	v_cvt_u32_f32_e32 v10, v10
	v_mul_lo_u32 v16, s2, v11
	s_delay_alu instid0(VALU_DEP_2) | instskip(SKIP_1) | instid1(VALU_DEP_2)
	v_mul_hi_u32 v17, s2, v10
	v_mul_lo_u32 v18, s5, v10
	v_add_nc_u32_e32 v16, v17, v16
	v_mul_lo_u32 v17, s2, v10
	s_delay_alu instid0(VALU_DEP_2) | instskip(NEXT) | instid1(VALU_DEP_2)
	v_add_nc_u32_e32 v16, v16, v18
	v_mul_hi_u32 v18, v10, v17
	s_delay_alu instid0(VALU_DEP_2)
	v_mul_lo_u32 v19, v10, v16
	v_mul_hi_u32 v20, v10, v16
	v_mul_hi_u32 v21, v11, v17
	v_mul_lo_u32 v17, v11, v17
	v_mul_hi_u32 v22, v11, v16
	v_mul_lo_u32 v16, v11, v16
	v_add_co_u32 v18, vcc_lo, v18, v19
	v_add_co_ci_u32_e32 v19, vcc_lo, 0, v20, vcc_lo
	s_delay_alu instid0(VALU_DEP_2) | instskip(NEXT) | instid1(VALU_DEP_2)
	v_add_co_u32 v17, vcc_lo, v18, v17
	v_add_co_ci_u32_e32 v17, vcc_lo, v19, v21, vcc_lo
	v_add_co_ci_u32_e32 v18, vcc_lo, 0, v22, vcc_lo
	v_ashrrev_i32_e32 v21, 31, v15
	s_delay_alu instid0(VALU_DEP_3) | instskip(NEXT) | instid1(VALU_DEP_3)
	v_add_co_u32 v16, vcc_lo, v17, v16
	v_add_co_ci_u32_e32 v17, vcc_lo, 0, v18, vcc_lo
	s_delay_alu instid0(VALU_DEP_2) | instskip(NEXT) | instid1(VALU_DEP_2)
	v_add_co_u32 v10, vcc_lo, v10, v16
	v_add_co_ci_u32_e32 v11, vcc_lo, v11, v17, vcc_lo
	s_delay_alu instid0(VALU_DEP_2) | instskip(SKIP_1) | instid1(VALU_DEP_3)
	v_mul_hi_u32 v16, s2, v10
	v_mul_lo_u32 v18, s5, v10
	v_mul_lo_u32 v17, s2, v11
	s_delay_alu instid0(VALU_DEP_1) | instskip(SKIP_1) | instid1(VALU_DEP_2)
	v_add_nc_u32_e32 v16, v16, v17
	v_mul_lo_u32 v17, s2, v10
	v_add_nc_u32_e32 v16, v16, v18
	s_delay_alu instid0(VALU_DEP_2) | instskip(NEXT) | instid1(VALU_DEP_2)
	v_mul_hi_u32 v18, v10, v17
	v_mul_lo_u32 v19, v10, v16
	v_mul_hi_u32 v20, v10, v16
	v_mul_hi_u32 v22, v11, v17
	v_mul_lo_u32 v17, v11, v17
	v_mul_hi_u32 v23, v11, v16
	v_mul_lo_u32 v16, v11, v16
	v_add_co_u32 v18, vcc_lo, v18, v19
	v_add_co_ci_u32_e32 v19, vcc_lo, 0, v20, vcc_lo
	s_delay_alu instid0(VALU_DEP_2) | instskip(NEXT) | instid1(VALU_DEP_2)
	v_add_co_u32 v17, vcc_lo, v18, v17
	v_add_co_ci_u32_e32 v17, vcc_lo, v19, v22, vcc_lo
	v_add_co_ci_u32_e32 v18, vcc_lo, 0, v23, vcc_lo
	v_add_co_u32 v19, vcc_lo, v14, v21
	v_add_co_ci_u32_e32 v20, vcc_lo, v15, v21, vcc_lo
	s_delay_alu instid0(VALU_DEP_4) | instskip(NEXT) | instid1(VALU_DEP_4)
	v_add_co_u32 v16, vcc_lo, v17, v16
	v_add_co_ci_u32_e32 v17, vcc_lo, 0, v18, vcc_lo
	s_delay_alu instid0(VALU_DEP_4) | instskip(NEXT) | instid1(VALU_DEP_3)
	v_xor_b32_e32 v22, v19, v21
	v_add_co_u32 v18, vcc_lo, v10, v16
	s_delay_alu instid0(VALU_DEP_3) | instskip(SKIP_1) | instid1(VALU_DEP_3)
	v_add_co_ci_u32_e32 v23, vcc_lo, v11, v17, vcc_lo
	v_xor_b32_e32 v20, v20, v21
	v_mul_hi_u32 v24, v22, v18
	s_delay_alu instid0(VALU_DEP_3) | instskip(NEXT) | instid1(VALU_DEP_3)
	v_mad_u64_u32 v[10:11], null, v22, v23, 0
	v_mad_u64_u32 v[16:17], null, v20, v18, 0
	;; [unrolled: 1-line block ×3, first 2 shown]
	s_delay_alu instid0(VALU_DEP_3) | instskip(NEXT) | instid1(VALU_DEP_4)
	v_add_co_u32 v10, vcc_lo, v24, v10
	v_add_co_ci_u32_e32 v11, vcc_lo, 0, v11, vcc_lo
	s_delay_alu instid0(VALU_DEP_2) | instskip(NEXT) | instid1(VALU_DEP_2)
	v_add_co_u32 v10, vcc_lo, v10, v16
	v_add_co_ci_u32_e32 v10, vcc_lo, v11, v17, vcc_lo
	v_add_co_ci_u32_e32 v11, vcc_lo, 0, v19, vcc_lo
	s_delay_alu instid0(VALU_DEP_2) | instskip(NEXT) | instid1(VALU_DEP_2)
	v_add_co_u32 v16, vcc_lo, v10, v18
	v_add_co_ci_u32_e32 v17, vcc_lo, 0, v11, vcc_lo
	s_delay_alu instid0(VALU_DEP_2) | instskip(SKIP_1) | instid1(VALU_DEP_3)
	v_mul_lo_u32 v18, s7, v16
	v_mad_u64_u32 v[10:11], null, s6, v16, 0
	v_mul_lo_u32 v19, s6, v17
	s_delay_alu instid0(VALU_DEP_2) | instskip(NEXT) | instid1(VALU_DEP_2)
	v_sub_co_u32 v10, vcc_lo, v22, v10
	v_add3_u32 v11, v11, v19, v18
	s_delay_alu instid0(VALU_DEP_1) | instskip(NEXT) | instid1(VALU_DEP_1)
	v_sub_nc_u32_e32 v18, v20, v11
	v_subrev_co_ci_u32_e64 v18, s2, s7, v18, vcc_lo
	v_add_co_u32 v19, s2, v16, 2
	s_delay_alu instid0(VALU_DEP_1) | instskip(SKIP_3) | instid1(VALU_DEP_3)
	v_add_co_ci_u32_e64 v22, s2, 0, v17, s2
	v_sub_co_u32 v23, s2, v10, s6
	v_sub_co_ci_u32_e32 v11, vcc_lo, v20, v11, vcc_lo
	v_subrev_co_ci_u32_e64 v18, s2, 0, v18, s2
	v_cmp_le_u32_e32 vcc_lo, s6, v23
	s_delay_alu instid0(VALU_DEP_3) | instskip(SKIP_1) | instid1(VALU_DEP_4)
	v_cmp_eq_u32_e64 s2, s7, v11
	v_cndmask_b32_e64 v20, 0, -1, vcc_lo
	v_cmp_le_u32_e32 vcc_lo, s7, v18
	v_cndmask_b32_e64 v23, 0, -1, vcc_lo
	v_cmp_le_u32_e32 vcc_lo, s6, v10
	v_cndmask_b32_e64 v10, 0, -1, vcc_lo
	v_cmp_le_u32_e32 vcc_lo, s7, v11
	v_cndmask_b32_e64 v24, 0, -1, vcc_lo
	v_cmp_eq_u32_e32 vcc_lo, s7, v18
	s_delay_alu instid0(VALU_DEP_2) | instskip(SKIP_3) | instid1(VALU_DEP_3)
	v_cndmask_b32_e64 v10, v24, v10, s2
	v_cndmask_b32_e32 v18, v23, v20, vcc_lo
	v_add_co_u32 v20, vcc_lo, v16, 1
	v_add_co_ci_u32_e32 v23, vcc_lo, 0, v17, vcc_lo
	v_cmp_ne_u32_e32 vcc_lo, 0, v18
	s_delay_alu instid0(VALU_DEP_2) | instskip(SKIP_2) | instid1(VALU_DEP_3)
	v_dual_cndmask_b32 v11, v23, v22 :: v_dual_cndmask_b32 v18, v20, v19
	v_cmp_ne_u32_e32 vcc_lo, 0, v10
	v_xor_b32_e32 v19, s4, v21
	v_dual_cndmask_b32 v10, v17, v11 :: v_dual_cndmask_b32 v11, v16, v18
	s_delay_alu instid0(VALU_DEP_1) | instskip(NEXT) | instid1(VALU_DEP_2)
	v_xor_b32_e32 v16, v10, v19
	v_xor_b32_e32 v11, v11, v19
	s_delay_alu instid0(VALU_DEP_1) | instskip(NEXT) | instid1(VALU_DEP_3)
	v_sub_co_u32 v10, vcc_lo, v11, v19
	v_sub_co_ci_u32_e32 v11, vcc_lo, v16, v19, vcc_lo
.LBB5_23:
	s_and_not1_saveexec_b32 s2, s3
	s_cbranch_execz .LBB5_25
; %bb.24:
	v_cvt_f32_u32_e32 v10, s40
	s_sub_i32 s3, 0, s40
	s_delay_alu instid0(VALU_DEP_1) | instskip(SKIP_2) | instid1(VALU_DEP_1)
	v_rcp_iflag_f32_e32 v10, v10
	s_waitcnt_depctr 0xfff
	v_mul_f32_e32 v10, 0x4f7ffffe, v10
	v_cvt_u32_f32_e32 v10, v10
	s_delay_alu instid0(VALU_DEP_1) | instskip(NEXT) | instid1(VALU_DEP_1)
	v_mul_lo_u32 v11, s3, v10
	v_mul_hi_u32 v11, v10, v11
	s_delay_alu instid0(VALU_DEP_1) | instskip(NEXT) | instid1(VALU_DEP_1)
	v_add_nc_u32_e32 v10, v10, v11
	v_mul_hi_u32 v10, v14, v10
	s_delay_alu instid0(VALU_DEP_1) | instskip(SKIP_1) | instid1(VALU_DEP_2)
	v_mul_lo_u32 v11, v10, s40
	v_add_nc_u32_e32 v16, 1, v10
	v_sub_nc_u32_e32 v11, v14, v11
	s_delay_alu instid0(VALU_DEP_1) | instskip(SKIP_1) | instid1(VALU_DEP_2)
	v_subrev_nc_u32_e32 v17, s40, v11
	v_cmp_le_u32_e32 vcc_lo, s40, v11
	v_dual_cndmask_b32 v11, v11, v17 :: v_dual_cndmask_b32 v10, v10, v16
	s_delay_alu instid0(VALU_DEP_1) | instskip(NEXT) | instid1(VALU_DEP_2)
	v_cmp_le_u32_e32 vcc_lo, s40, v11
	v_dual_mov_b32 v11, 0 :: v_dual_add_nc_u32 v16, 1, v10
	s_delay_alu instid0(VALU_DEP_1)
	v_cndmask_b32_e32 v10, v10, v16, vcc_lo
.LBB5_25:
	s_or_b32 exec_lo, exec_lo, s2
	v_mul_lo_u32 v18, v7, s22
	v_mul_lo_u32 v19, v6, s23
	v_mad_u64_u32 v[16:17], null, v6, s22, 0
	v_mul_lo_u32 v7, v7, s30
	v_mul_lo_u32 v3, v3, s36
	s_load_b64 s[0:1], s[0:1], 0x80
	s_delay_alu instid0(VALU_DEP_3) | instskip(NEXT) | instid1(VALU_DEP_4)
	v_add3_u32 v17, v17, v19, v18
	v_sub_co_u32 v12, vcc_lo, v12, v16
	s_delay_alu instid0(VALU_DEP_2) | instskip(NEXT) | instid1(VALU_DEP_1)
	v_sub_co_ci_u32_e32 v13, vcc_lo, v13, v17, vcc_lo
	v_ashrrev_i32_e32 v16, 31, v13
	s_delay_alu instid0(VALU_DEP_1) | instskip(SKIP_2) | instid1(VALU_DEP_2)
	v_lshrrev_b32_e32 v16, 27, v16
	s_waitcnt lgkmcnt(0)
	v_mul_lo_u32 v9, v9, s0
	v_add_co_u32 v12, vcc_lo, v12, v16
	v_add_co_ci_u32_e32 v13, vcc_lo, 0, v13, vcc_lo
	s_delay_alu instid0(VALU_DEP_1) | instskip(NEXT) | instid1(VALU_DEP_1)
	v_ashrrev_i64 v[12:13], 5, v[12:13]
	v_mul_lo_u32 v18, v12, s29
	s_delay_alu instid0(VALU_DEP_2) | instskip(SKIP_1) | instid1(VALU_DEP_1)
	v_mul_lo_u32 v13, v13, s28
	v_mad_u64_u32 v[16:17], null, v12, s28, s[16:17]
	v_add3_u32 v17, v13, v17, v18
	v_mul_lo_u32 v18, v6, s31
	s_delay_alu instid0(VALU_DEP_2) | instskip(SKIP_1) | instid1(VALU_DEP_2)
	v_mad_u64_u32 v[12:13], null, v6, s30, v[16:17]
	v_mul_lo_u32 v16, v2, s37
	v_add3_u32 v13, v7, v13, v18
	s_delay_alu instid0(VALU_DEP_1) | instskip(SKIP_1) | instid1(VALU_DEP_2)
	v_mad_u64_u32 v[6:7], null, v2, s36, v[12:13]
	v_mul_lo_u32 v12, v1, s38
	v_add3_u32 v7, v3, v7, v16
	v_mul_lo_u32 v3, v0, s39
	s_delay_alu instid0(VALU_DEP_2) | instskip(SKIP_1) | instid1(VALU_DEP_2)
	v_mad_u64_u32 v[1:2], null, v0, s38, v[6:7]
	v_mad_u64_u32 v[6:7], null, v10, s40, 0
	v_add3_u32 v2, v12, v2, v3
	s_clause 0x1
	global_load_u8 v0, v[1:2], off offset:4
	global_load_b32 v13, v[1:2], off
	v_mul_lo_u32 v3, v11, s40
	v_mul_lo_u32 v12, v10, s41
	s_delay_alu instid0(VALU_DEP_1) | instskip(SKIP_1) | instid1(VALU_DEP_2)
	v_add3_u32 v3, v7, v12, v3
	v_sub_co_u32 v12, vcc_lo, v14, v6
	v_sub_co_ci_u32_e32 v3, vcc_lo, v15, v3, vcc_lo
	s_delay_alu instid0(VALU_DEP_2) | instskip(SKIP_1) | instid1(VALU_DEP_3)
	v_mul_lo_u32 v14, v12, s47
	v_mad_u64_u32 v[6:7], null, v12, s46, s[18:19]
	v_mul_lo_u32 v3, v3, s46
	s_delay_alu instid0(VALU_DEP_1) | instskip(SKIP_2) | instid1(VALU_DEP_3)
	v_add3_u32 v7, v3, v7, v14
	v_mul_lo_u32 v3, v10, s49
	v_mul_lo_u32 v14, v11, s48
	v_mad_u64_u32 v[11:12], null, v10, s48, v[6:7]
	v_mul_lo_u32 v7, v5, s50
	s_delay_alu instid0(VALU_DEP_2) | instskip(SKIP_1) | instid1(VALU_DEP_2)
	v_add3_u32 v12, v14, v12, v3
	v_mul_lo_u32 v3, v4, s51
	v_mad_u64_u32 v[5:6], null, v4, s50, v[11:12]
	s_delay_alu instid0(VALU_DEP_1) | instskip(SKIP_1) | instid1(VALU_DEP_2)
	v_add3_u32 v6, v7, v6, v3
	v_mul_lo_u32 v7, v8, s1
	v_mad_u64_u32 v[3:4], null, v8, s0, v[5:6]
	s_delay_alu instid0(VALU_DEP_1) | instskip(SKIP_3) | instid1(VALU_DEP_2)
	v_add3_u32 v4, v9, v4, v7
	s_waitcnt vmcnt(1)
	v_and_b32_e32 v5, 15, v0
	v_lshrrev_b32_e32 v0, 4, v0
	v_cvt_f32_ubyte0_e32 v5, v5
	s_delay_alu instid0(VALU_DEP_2) | instskip(SKIP_1) | instid1(VALU_DEP_2)
	v_cvt_f32_ubyte0_e32 v0, v0
	s_waitcnt vmcnt(0)
	v_fma_mix_f32 v5, v13, v5, v13 op_sel:[0,0,1] op_sel_hi:[1,0,1]
	s_delay_alu instid0(VALU_DEP_2)
	v_fma_mix_f32 v0, v13, v0, v13 op_sel:[0,0,1] op_sel_hi:[1,0,1]
	s_clause 0x1
	global_store_b32 v[3:4], v5, off
	global_store_b32 v[3:4], v0, off offset:64
	s_clause 0x1
	global_load_u8 v0, v[1:2], off offset:5
	global_load_b32 v5, v[1:2], off
	s_waitcnt vmcnt(1)
	v_and_b32_e32 v6, 15, v0
	v_lshrrev_b32_e32 v0, 4, v0
	s_delay_alu instid0(VALU_DEP_2) | instskip(NEXT) | instid1(VALU_DEP_2)
	v_cvt_f32_ubyte0_e32 v6, v6
	v_cvt_f32_ubyte0_e32 v0, v0
	s_waitcnt vmcnt(0)
	s_delay_alu instid0(VALU_DEP_2) | instskip(NEXT) | instid1(VALU_DEP_2)
	v_fma_mix_f32 v6, v5, v6, v5 op_sel:[0,0,1] op_sel_hi:[1,0,1]
	v_fma_mix_f32 v0, v5, v0, v5 op_sel:[0,0,1] op_sel_hi:[1,0,1]
	s_clause 0x1
	global_store_b32 v[3:4], v6, off offset:4
	global_store_b32 v[3:4], v0, off offset:68
	s_clause 0x1
	global_load_u8 v0, v[1:2], off offset:6
	global_load_b32 v5, v[1:2], off
	s_waitcnt vmcnt(1)
	v_and_b32_e32 v6, 15, v0
	v_lshrrev_b32_e32 v0, 4, v0
	s_delay_alu instid0(VALU_DEP_2) | instskip(NEXT) | instid1(VALU_DEP_2)
	v_cvt_f32_ubyte0_e32 v6, v6
	v_cvt_f32_ubyte0_e32 v0, v0
	s_waitcnt vmcnt(0)
	s_delay_alu instid0(VALU_DEP_2) | instskip(NEXT) | instid1(VALU_DEP_2)
	v_fma_mix_f32 v6, v5, v6, v5 op_sel:[0,0,1] op_sel_hi:[1,0,1]
	v_fma_mix_f32 v0, v5, v0, v5 op_sel:[0,0,1] op_sel_hi:[1,0,1]
	s_clause 0x1
	global_store_b32 v[3:4], v6, off offset:8
	global_store_b32 v[3:4], v0, off offset:72
	s_clause 0x1
	global_load_u8 v0, v[1:2], off offset:7
	global_load_b32 v5, v[1:2], off
	s_waitcnt vmcnt(1)
	v_and_b32_e32 v6, 15, v0
	v_lshrrev_b32_e32 v0, 4, v0
	s_delay_alu instid0(VALU_DEP_2) | instskip(NEXT) | instid1(VALU_DEP_2)
	v_cvt_f32_ubyte0_e32 v6, v6
	v_cvt_f32_ubyte0_e32 v0, v0
	s_waitcnt vmcnt(0)
	s_delay_alu instid0(VALU_DEP_2) | instskip(NEXT) | instid1(VALU_DEP_2)
	v_fma_mix_f32 v6, v5, v6, v5 op_sel:[0,0,1] op_sel_hi:[1,0,1]
	v_fma_mix_f32 v0, v5, v0, v5 op_sel:[0,0,1] op_sel_hi:[1,0,1]
	s_clause 0x1
	global_store_b32 v[3:4], v6, off offset:12
	global_store_b32 v[3:4], v0, off offset:76
	s_clause 0x1
	global_load_u8 v0, v[1:2], off offset:8
	global_load_b32 v5, v[1:2], off
	s_waitcnt vmcnt(1)
	v_and_b32_e32 v6, 15, v0
	v_lshrrev_b32_e32 v0, 4, v0
	s_delay_alu instid0(VALU_DEP_2) | instskip(NEXT) | instid1(VALU_DEP_2)
	v_cvt_f32_ubyte0_e32 v6, v6
	v_cvt_f32_ubyte0_e32 v0, v0
	s_waitcnt vmcnt(0)
	s_delay_alu instid0(VALU_DEP_2) | instskip(NEXT) | instid1(VALU_DEP_2)
	v_fma_mix_f32 v6, v5, v6, v5 op_sel:[0,0,1] op_sel_hi:[1,0,1]
	v_fma_mix_f32 v0, v5, v0, v5 op_sel:[0,0,1] op_sel_hi:[1,0,1]
	s_clause 0x1
	global_store_b32 v[3:4], v6, off offset:16
	global_store_b32 v[3:4], v0, off offset:80
	s_clause 0x1
	global_load_u8 v0, v[1:2], off offset:9
	global_load_b32 v5, v[1:2], off
	s_waitcnt vmcnt(1)
	v_and_b32_e32 v6, 15, v0
	v_lshrrev_b32_e32 v0, 4, v0
	s_delay_alu instid0(VALU_DEP_2) | instskip(NEXT) | instid1(VALU_DEP_2)
	v_cvt_f32_ubyte0_e32 v6, v6
	v_cvt_f32_ubyte0_e32 v0, v0
	s_waitcnt vmcnt(0)
	s_delay_alu instid0(VALU_DEP_2) | instskip(NEXT) | instid1(VALU_DEP_2)
	v_fma_mix_f32 v6, v5, v6, v5 op_sel:[0,0,1] op_sel_hi:[1,0,1]
	v_fma_mix_f32 v0, v5, v0, v5 op_sel:[0,0,1] op_sel_hi:[1,0,1]
	s_clause 0x1
	global_store_b32 v[3:4], v6, off offset:20
	global_store_b32 v[3:4], v0, off offset:84
	s_clause 0x1
	global_load_u8 v0, v[1:2], off offset:10
	global_load_b32 v5, v[1:2], off
	s_waitcnt vmcnt(1)
	v_and_b32_e32 v6, 15, v0
	v_lshrrev_b32_e32 v0, 4, v0
	s_delay_alu instid0(VALU_DEP_2) | instskip(NEXT) | instid1(VALU_DEP_2)
	v_cvt_f32_ubyte0_e32 v6, v6
	v_cvt_f32_ubyte0_e32 v0, v0
	s_waitcnt vmcnt(0)
	s_delay_alu instid0(VALU_DEP_2) | instskip(NEXT) | instid1(VALU_DEP_2)
	v_fma_mix_f32 v6, v5, v6, v5 op_sel:[0,0,1] op_sel_hi:[1,0,1]
	v_fma_mix_f32 v0, v5, v0, v5 op_sel:[0,0,1] op_sel_hi:[1,0,1]
	s_clause 0x1
	global_store_b32 v[3:4], v6, off offset:24
	global_store_b32 v[3:4], v0, off offset:88
	s_clause 0x1
	global_load_u8 v0, v[1:2], off offset:11
	global_load_b32 v5, v[1:2], off
	s_waitcnt vmcnt(1)
	v_and_b32_e32 v6, 15, v0
	v_lshrrev_b32_e32 v0, 4, v0
	s_delay_alu instid0(VALU_DEP_2) | instskip(NEXT) | instid1(VALU_DEP_2)
	v_cvt_f32_ubyte0_e32 v6, v6
	v_cvt_f32_ubyte0_e32 v0, v0
	s_waitcnt vmcnt(0)
	s_delay_alu instid0(VALU_DEP_2) | instskip(NEXT) | instid1(VALU_DEP_2)
	v_fma_mix_f32 v6, v5, v6, v5 op_sel:[0,0,1] op_sel_hi:[1,0,1]
	v_fma_mix_f32 v0, v5, v0, v5 op_sel:[0,0,1] op_sel_hi:[1,0,1]
	s_clause 0x1
	global_store_b32 v[3:4], v6, off offset:28
	global_store_b32 v[3:4], v0, off offset:92
	s_clause 0x1
	global_load_u8 v0, v[1:2], off offset:12
	global_load_b32 v5, v[1:2], off
	s_waitcnt vmcnt(1)
	v_and_b32_e32 v6, 15, v0
	v_lshrrev_b32_e32 v0, 4, v0
	s_delay_alu instid0(VALU_DEP_2) | instskip(NEXT) | instid1(VALU_DEP_2)
	v_cvt_f32_ubyte0_e32 v6, v6
	v_cvt_f32_ubyte0_e32 v0, v0
	s_waitcnt vmcnt(0)
	s_delay_alu instid0(VALU_DEP_2) | instskip(NEXT) | instid1(VALU_DEP_2)
	v_fma_mix_f32 v6, v5, v6, v5 op_sel:[0,0,1] op_sel_hi:[1,0,1]
	v_fma_mix_f32 v0, v5, v0, v5 op_sel:[0,0,1] op_sel_hi:[1,0,1]
	s_clause 0x1
	global_store_b32 v[3:4], v6, off offset:32
	global_store_b32 v[3:4], v0, off offset:96
	s_clause 0x1
	global_load_u8 v0, v[1:2], off offset:13
	global_load_b32 v5, v[1:2], off
	s_waitcnt vmcnt(1)
	v_and_b32_e32 v6, 15, v0
	v_lshrrev_b32_e32 v0, 4, v0
	s_delay_alu instid0(VALU_DEP_2) | instskip(NEXT) | instid1(VALU_DEP_2)
	v_cvt_f32_ubyte0_e32 v6, v6
	v_cvt_f32_ubyte0_e32 v0, v0
	s_waitcnt vmcnt(0)
	s_delay_alu instid0(VALU_DEP_2) | instskip(NEXT) | instid1(VALU_DEP_2)
	v_fma_mix_f32 v6, v5, v6, v5 op_sel:[0,0,1] op_sel_hi:[1,0,1]
	v_fma_mix_f32 v0, v5, v0, v5 op_sel:[0,0,1] op_sel_hi:[1,0,1]
	s_clause 0x1
	global_store_b32 v[3:4], v6, off offset:36
	global_store_b32 v[3:4], v0, off offset:100
	s_clause 0x1
	global_load_u8 v0, v[1:2], off offset:14
	global_load_b32 v5, v[1:2], off
	s_waitcnt vmcnt(1)
	v_and_b32_e32 v6, 15, v0
	v_lshrrev_b32_e32 v0, 4, v0
	s_delay_alu instid0(VALU_DEP_2) | instskip(NEXT) | instid1(VALU_DEP_2)
	v_cvt_f32_ubyte0_e32 v6, v6
	v_cvt_f32_ubyte0_e32 v0, v0
	s_waitcnt vmcnt(0)
	s_delay_alu instid0(VALU_DEP_2) | instskip(NEXT) | instid1(VALU_DEP_2)
	v_fma_mix_f32 v6, v5, v6, v5 op_sel:[0,0,1] op_sel_hi:[1,0,1]
	v_fma_mix_f32 v0, v5, v0, v5 op_sel:[0,0,1] op_sel_hi:[1,0,1]
	s_clause 0x1
	global_store_b32 v[3:4], v6, off offset:40
	global_store_b32 v[3:4], v0, off offset:104
	s_clause 0x1
	global_load_u8 v0, v[1:2], off offset:15
	global_load_b32 v5, v[1:2], off
	s_waitcnt vmcnt(1)
	v_and_b32_e32 v6, 15, v0
	v_lshrrev_b32_e32 v0, 4, v0
	s_delay_alu instid0(VALU_DEP_2) | instskip(NEXT) | instid1(VALU_DEP_2)
	v_cvt_f32_ubyte0_e32 v6, v6
	v_cvt_f32_ubyte0_e32 v0, v0
	s_waitcnt vmcnt(0)
	s_delay_alu instid0(VALU_DEP_2) | instskip(NEXT) | instid1(VALU_DEP_2)
	v_fma_mix_f32 v6, v5, v6, v5 op_sel:[0,0,1] op_sel_hi:[1,0,1]
	v_fma_mix_f32 v0, v5, v0, v5 op_sel:[0,0,1] op_sel_hi:[1,0,1]
	s_clause 0x1
	global_store_b32 v[3:4], v6, off offset:44
	global_store_b32 v[3:4], v0, off offset:108
	s_clause 0x1
	global_load_u8 v0, v[1:2], off offset:16
	global_load_b32 v5, v[1:2], off
	s_waitcnt vmcnt(1)
	v_and_b32_e32 v6, 15, v0
	v_lshrrev_b32_e32 v0, 4, v0
	s_delay_alu instid0(VALU_DEP_2) | instskip(NEXT) | instid1(VALU_DEP_2)
	v_cvt_f32_ubyte0_e32 v6, v6
	v_cvt_f32_ubyte0_e32 v0, v0
	s_waitcnt vmcnt(0)
	s_delay_alu instid0(VALU_DEP_2) | instskip(NEXT) | instid1(VALU_DEP_2)
	v_fma_mix_f32 v6, v5, v6, v5 op_sel:[0,0,1] op_sel_hi:[1,0,1]
	v_fma_mix_f32 v0, v5, v0, v5 op_sel:[0,0,1] op_sel_hi:[1,0,1]
	s_clause 0x1
	global_store_b32 v[3:4], v6, off offset:48
	global_store_b32 v[3:4], v0, off offset:112
	s_clause 0x1
	global_load_u8 v0, v[1:2], off offset:17
	global_load_b32 v5, v[1:2], off
	s_waitcnt vmcnt(1)
	v_and_b32_e32 v6, 15, v0
	v_lshrrev_b32_e32 v0, 4, v0
	s_delay_alu instid0(VALU_DEP_2) | instskip(NEXT) | instid1(VALU_DEP_2)
	v_cvt_f32_ubyte0_e32 v6, v6
	v_cvt_f32_ubyte0_e32 v0, v0
	s_waitcnt vmcnt(0)
	s_delay_alu instid0(VALU_DEP_2) | instskip(NEXT) | instid1(VALU_DEP_2)
	v_fma_mix_f32 v6, v5, v6, v5 op_sel:[0,0,1] op_sel_hi:[1,0,1]
	v_fma_mix_f32 v0, v5, v0, v5 op_sel:[0,0,1] op_sel_hi:[1,0,1]
	s_clause 0x1
	global_store_b32 v[3:4], v6, off offset:52
	global_store_b32 v[3:4], v0, off offset:116
	s_clause 0x1
	global_load_u8 v0, v[1:2], off offset:18
	global_load_b32 v5, v[1:2], off
	s_waitcnt vmcnt(1)
	v_and_b32_e32 v6, 15, v0
	v_lshrrev_b32_e32 v0, 4, v0
	s_delay_alu instid0(VALU_DEP_2) | instskip(NEXT) | instid1(VALU_DEP_2)
	v_cvt_f32_ubyte0_e32 v6, v6
	v_cvt_f32_ubyte0_e32 v0, v0
	s_waitcnt vmcnt(0)
	s_delay_alu instid0(VALU_DEP_2) | instskip(NEXT) | instid1(VALU_DEP_2)
	v_fma_mix_f32 v6, v5, v6, v5 op_sel:[0,0,1] op_sel_hi:[1,0,1]
	v_fma_mix_f32 v0, v5, v0, v5 op_sel:[0,0,1] op_sel_hi:[1,0,1]
	s_clause 0x1
	global_store_b32 v[3:4], v6, off offset:56
	global_store_b32 v[3:4], v0, off offset:120
	s_clause 0x1
	global_load_u8 v0, v[1:2], off offset:19
	global_load_b32 v1, v[1:2], off
	s_waitcnt vmcnt(1)
	v_and_b32_e32 v2, 15, v0
	v_lshrrev_b32_e32 v0, 4, v0
	s_delay_alu instid0(VALU_DEP_2) | instskip(NEXT) | instid1(VALU_DEP_2)
	v_cvt_f32_ubyte0_e32 v2, v2
	v_cvt_f32_ubyte0_e32 v0, v0
	s_waitcnt vmcnt(0)
	s_delay_alu instid0(VALU_DEP_2) | instskip(NEXT) | instid1(VALU_DEP_2)
	v_fma_mix_f32 v2, v1, v2, v1 op_sel:[0,0,1] op_sel_hi:[1,0,1]
	v_fma_mix_f32 v0, v1, v0, v1 op_sel:[0,0,1] op_sel_hi:[1,0,1]
	s_clause 0x1
	global_store_b32 v[3:4], v2, off offset:60
	global_store_b32 v[3:4], v0, off offset:124
.LBB5_26:
	s_nop 0
	s_sendmsg sendmsg(MSG_DEALLOC_VGPRS)
	s_endpgm
	.section	.rodata,"a",@progbits
	.p2align	6, 0x0
	.amdhsa_kernel _ZL9cpy_q_f32IXadL_ZL14cpy_blck_q_f32IXadL_ZL15dequantize_q4_1PKvliR15HIP_vector_typeIfLj2EEEELi32EEvPKcPcEELi32EEvS7_S8_lllllllllllllll
		.amdhsa_group_segment_fixed_size 0
		.amdhsa_private_segment_fixed_size 0
		.amdhsa_kernarg_size 392
		.amdhsa_user_sgpr_count 15
		.amdhsa_user_sgpr_dispatch_ptr 0
		.amdhsa_user_sgpr_queue_ptr 0
		.amdhsa_user_sgpr_kernarg_segment_ptr 1
		.amdhsa_user_sgpr_dispatch_id 0
		.amdhsa_user_sgpr_private_segment_size 0
		.amdhsa_wavefront_size32 1
		.amdhsa_uses_dynamic_stack 0
		.amdhsa_enable_private_segment 0
		.amdhsa_system_sgpr_workgroup_id_x 1
		.amdhsa_system_sgpr_workgroup_id_y 0
		.amdhsa_system_sgpr_workgroup_id_z 0
		.amdhsa_system_sgpr_workgroup_info 0
		.amdhsa_system_vgpr_workitem_id 0
		.amdhsa_next_free_vgpr 25
		.amdhsa_next_free_sgpr 52
		.amdhsa_reserve_vcc 1
		.amdhsa_float_round_mode_32 0
		.amdhsa_float_round_mode_16_64 0
		.amdhsa_float_denorm_mode_32 3
		.amdhsa_float_denorm_mode_16_64 3
		.amdhsa_dx10_clamp 1
		.amdhsa_ieee_mode 1
		.amdhsa_fp16_overflow 0
		.amdhsa_workgroup_processor_mode 1
		.amdhsa_memory_ordered 1
		.amdhsa_forward_progress 0
		.amdhsa_shared_vgpr_count 0
		.amdhsa_exception_fp_ieee_invalid_op 0
		.amdhsa_exception_fp_denorm_src 0
		.amdhsa_exception_fp_ieee_div_zero 0
		.amdhsa_exception_fp_ieee_overflow 0
		.amdhsa_exception_fp_ieee_underflow 0
		.amdhsa_exception_fp_ieee_inexact 0
		.amdhsa_exception_int_div_zero 0
	.end_amdhsa_kernel
	.section	.text._ZL9cpy_q_f32IXadL_ZL14cpy_blck_q_f32IXadL_ZL15dequantize_q4_1PKvliR15HIP_vector_typeIfLj2EEEELi32EEvPKcPcEELi32EEvS7_S8_lllllllllllllll,"axG",@progbits,_ZL9cpy_q_f32IXadL_ZL14cpy_blck_q_f32IXadL_ZL15dequantize_q4_1PKvliR15HIP_vector_typeIfLj2EEEELi32EEvPKcPcEELi32EEvS7_S8_lllllllllllllll,comdat
.Lfunc_end5:
	.size	_ZL9cpy_q_f32IXadL_ZL14cpy_blck_q_f32IXadL_ZL15dequantize_q4_1PKvliR15HIP_vector_typeIfLj2EEEELi32EEvPKcPcEELi32EEvS7_S8_lllllllllllllll, .Lfunc_end5-_ZL9cpy_q_f32IXadL_ZL14cpy_blck_q_f32IXadL_ZL15dequantize_q4_1PKvliR15HIP_vector_typeIfLj2EEEELi32EEvPKcPcEELi32EEvS7_S8_lllllllllllllll
                                        ; -- End function
	.section	.AMDGPU.csdata,"",@progbits
; Kernel info:
; codeLenInByte = 8188
; NumSgprs: 54
; NumVgprs: 25
; ScratchSize: 0
; MemoryBound: 0
; FloatMode: 240
; IeeeMode: 1
; LDSByteSize: 0 bytes/workgroup (compile time only)
; SGPRBlocks: 6
; VGPRBlocks: 3
; NumSGPRsForWavesPerEU: 54
; NumVGPRsForWavesPerEU: 25
; Occupancy: 16
; WaveLimiterHint : 0
; COMPUTE_PGM_RSRC2:SCRATCH_EN: 0
; COMPUTE_PGM_RSRC2:USER_SGPR: 15
; COMPUTE_PGM_RSRC2:TRAP_HANDLER: 0
; COMPUTE_PGM_RSRC2:TGID_X_EN: 1
; COMPUTE_PGM_RSRC2:TGID_Y_EN: 0
; COMPUTE_PGM_RSRC2:TGID_Z_EN: 0
; COMPUTE_PGM_RSRC2:TIDIG_COMP_CNT: 0
	.section	.text._ZL9cpy_f32_qIXadL_ZL17cpy_blck_f32_q5_0PKcPcEELi32EEvS1_S2_lllllllllllllll,"axG",@progbits,_ZL9cpy_f32_qIXadL_ZL17cpy_blck_f32_q5_0PKcPcEELi32EEvS1_S2_lllllllllllllll,comdat
	.globl	_ZL9cpy_f32_qIXadL_ZL17cpy_blck_f32_q5_0PKcPcEELi32EEvS1_S2_lllllllllllllll ; -- Begin function _ZL9cpy_f32_qIXadL_ZL17cpy_blck_f32_q5_0PKcPcEELi32EEvS1_S2_lllllllllllllll
	.p2align	8
	.type	_ZL9cpy_f32_qIXadL_ZL17cpy_blck_f32_q5_0PKcPcEELi32EEvS1_S2_lllllllllllllll,@function
_ZL9cpy_f32_qIXadL_ZL17cpy_blck_f32_q5_0PKcPcEELi32EEvS1_S2_lllllllllllllll: ; @_ZL9cpy_f32_qIXadL_ZL17cpy_blck_f32_q5_0PKcPcEELi32EEvS1_S2_lllllllllllllll
; %bb.0:
	s_load_b32 s2, s[0:1], 0x94
	v_mov_b32_e32 v2, 0
	s_load_b512 s[16:31], s[0:1], 0x0
	s_delay_alu instid0(VALU_DEP_1)
	v_mov_b32_e32 v1, v2
	s_waitcnt lgkmcnt(0)
	s_and_b32 s2, s2, 0xffff
	s_delay_alu instid0(VALU_DEP_1) | instid1(SALU_CYCLE_1)
	v_mad_u64_u32 v[3:4], null, s2, s15, v[0:1]
	s_mov_b32 s2, exec_lo
	s_delay_alu instid0(VALU_DEP_1) | instskip(NEXT) | instid1(VALU_DEP_1)
	v_lshlrev_b64 v[6:7], 5, v[3:4]
	v_cmpx_gt_i64_e64 s[20:21], v[6:7]
	s_cbranch_execz .LBB6_28
; %bb.1:
	s_mul_i32 s2, s24, s23
	s_mul_hi_u32 s3, s24, s22
                                        ; implicit-def: $vgpr0_vgpr1
	s_delay_alu instid0(SALU_CYCLE_1)
	s_add_i32 s8, s3, s2
	s_mul_i32 s3, s24, s22
	s_mul_i32 s2, s25, s22
	;; [unrolled: 1-line block ×3, first 2 shown]
	s_mul_hi_u32 s5, s3, s26
	s_add_i32 s8, s8, s2
	s_add_i32 s2, s5, s4
	s_mul_i32 s4, s8, s26
	s_mul_i32 s10, s3, s26
	s_add_i32 s9, s2, s4
	s_mov_b32 s2, exec_lo
	v_or_b32_e32 v3, s9, v7
	s_delay_alu instid0(VALU_DEP_1)
	v_cmpx_ne_u64_e32 0, v[2:3]
	s_xor_b32 s11, exec_lo, s2
	s_cbranch_execz .LBB6_3
; %bb.2:
	s_ashr_i32 s4, s9, 31
	s_delay_alu instid0(SALU_CYCLE_1) | instskip(SKIP_2) | instid1(SALU_CYCLE_1)
	s_add_u32 s6, s10, s4
	s_mov_b32 s5, s4
	s_addc_u32 s7, s9, s4
	s_xor_b64 s[6:7], s[6:7], s[4:5]
	s_delay_alu instid0(SALU_CYCLE_1) | instskip(SKIP_3) | instid1(VALU_DEP_1)
	v_cvt_f32_u32_e32 v0, s6
	v_cvt_f32_u32_e32 v1, s7
	s_sub_u32 s2, 0, s6
	s_subb_u32 s5, 0, s7
	v_fmamk_f32 v0, v1, 0x4f800000, v0
	s_delay_alu instid0(VALU_DEP_1) | instskip(SKIP_2) | instid1(VALU_DEP_1)
	v_rcp_f32_e32 v0, v0
	s_waitcnt_depctr 0xfff
	v_mul_f32_e32 v0, 0x5f7ffffc, v0
	v_mul_f32_e32 v1, 0x2f800000, v0
	s_delay_alu instid0(VALU_DEP_1) | instskip(NEXT) | instid1(VALU_DEP_1)
	v_trunc_f32_e32 v1, v1
	v_fmamk_f32 v0, v1, 0xcf800000, v0
	v_cvt_u32_f32_e32 v1, v1
	s_delay_alu instid0(VALU_DEP_2) | instskip(NEXT) | instid1(VALU_DEP_2)
	v_cvt_u32_f32_e32 v0, v0
	v_mul_lo_u32 v2, s2, v1
	s_delay_alu instid0(VALU_DEP_2) | instskip(SKIP_1) | instid1(VALU_DEP_2)
	v_mul_hi_u32 v3, s2, v0
	v_mul_lo_u32 v4, s5, v0
	v_add_nc_u32_e32 v2, v3, v2
	v_mul_lo_u32 v3, s2, v0
	s_delay_alu instid0(VALU_DEP_2) | instskip(NEXT) | instid1(VALU_DEP_2)
	v_add_nc_u32_e32 v2, v2, v4
	v_mul_hi_u32 v4, v0, v3
	s_delay_alu instid0(VALU_DEP_2)
	v_mul_lo_u32 v5, v0, v2
	v_mul_hi_u32 v8, v0, v2
	v_mul_hi_u32 v9, v1, v3
	v_mul_lo_u32 v3, v1, v3
	v_mul_hi_u32 v10, v1, v2
	v_mul_lo_u32 v2, v1, v2
	v_add_co_u32 v4, vcc_lo, v4, v5
	v_add_co_ci_u32_e32 v5, vcc_lo, 0, v8, vcc_lo
	s_delay_alu instid0(VALU_DEP_2) | instskip(NEXT) | instid1(VALU_DEP_2)
	v_add_co_u32 v3, vcc_lo, v4, v3
	v_add_co_ci_u32_e32 v3, vcc_lo, v5, v9, vcc_lo
	v_add_co_ci_u32_e32 v4, vcc_lo, 0, v10, vcc_lo
	s_delay_alu instid0(VALU_DEP_2) | instskip(NEXT) | instid1(VALU_DEP_2)
	v_add_co_u32 v2, vcc_lo, v3, v2
	v_add_co_ci_u32_e32 v3, vcc_lo, 0, v4, vcc_lo
	s_delay_alu instid0(VALU_DEP_2) | instskip(NEXT) | instid1(VALU_DEP_2)
	v_add_co_u32 v0, vcc_lo, v0, v2
	v_add_co_ci_u32_e32 v1, vcc_lo, v1, v3, vcc_lo
	s_delay_alu instid0(VALU_DEP_2) | instskip(SKIP_1) | instid1(VALU_DEP_3)
	v_mul_hi_u32 v2, s2, v0
	v_mul_lo_u32 v4, s5, v0
	v_mul_lo_u32 v3, s2, v1
	s_delay_alu instid0(VALU_DEP_1) | instskip(SKIP_1) | instid1(VALU_DEP_2)
	v_add_nc_u32_e32 v2, v2, v3
	v_mul_lo_u32 v3, s2, v0
	v_add_nc_u32_e32 v2, v2, v4
	s_delay_alu instid0(VALU_DEP_2) | instskip(NEXT) | instid1(VALU_DEP_2)
	v_mul_hi_u32 v4, v0, v3
	v_mul_lo_u32 v5, v0, v2
	v_mul_hi_u32 v8, v0, v2
	v_mul_hi_u32 v9, v1, v3
	v_mul_lo_u32 v3, v1, v3
	v_mul_hi_u32 v10, v1, v2
	v_mul_lo_u32 v2, v1, v2
	v_add_co_u32 v4, vcc_lo, v4, v5
	v_add_co_ci_u32_e32 v5, vcc_lo, 0, v8, vcc_lo
	s_delay_alu instid0(VALU_DEP_2) | instskip(NEXT) | instid1(VALU_DEP_2)
	v_add_co_u32 v3, vcc_lo, v4, v3
	v_add_co_ci_u32_e32 v3, vcc_lo, v5, v9, vcc_lo
	v_add_co_ci_u32_e32 v4, vcc_lo, 0, v10, vcc_lo
	s_delay_alu instid0(VALU_DEP_2) | instskip(NEXT) | instid1(VALU_DEP_2)
	v_add_co_u32 v2, vcc_lo, v3, v2
	v_add_co_ci_u32_e32 v3, vcc_lo, 0, v4, vcc_lo
	s_delay_alu instid0(VALU_DEP_2) | instskip(NEXT) | instid1(VALU_DEP_2)
	v_add_co_u32 v4, vcc_lo, v0, v2
	v_add_co_ci_u32_e32 v8, vcc_lo, v1, v3, vcc_lo
	s_delay_alu instid0(VALU_DEP_2) | instskip(SKIP_1) | instid1(VALU_DEP_3)
	v_mul_hi_u32 v9, v6, v4
	v_mad_u64_u32 v[2:3], null, v7, v4, 0
	v_mad_u64_u32 v[0:1], null, v6, v8, 0
	;; [unrolled: 1-line block ×3, first 2 shown]
	s_delay_alu instid0(VALU_DEP_2) | instskip(NEXT) | instid1(VALU_DEP_3)
	v_add_co_u32 v0, vcc_lo, v9, v0
	v_add_co_ci_u32_e32 v1, vcc_lo, 0, v1, vcc_lo
	s_delay_alu instid0(VALU_DEP_2) | instskip(NEXT) | instid1(VALU_DEP_2)
	v_add_co_u32 v0, vcc_lo, v0, v2
	v_add_co_ci_u32_e32 v0, vcc_lo, v1, v3, vcc_lo
	v_add_co_ci_u32_e32 v1, vcc_lo, 0, v5, vcc_lo
	s_delay_alu instid0(VALU_DEP_2) | instskip(NEXT) | instid1(VALU_DEP_2)
	v_add_co_u32 v2, vcc_lo, v0, v4
	v_add_co_ci_u32_e32 v3, vcc_lo, 0, v1, vcc_lo
	s_delay_alu instid0(VALU_DEP_2) | instskip(SKIP_1) | instid1(VALU_DEP_3)
	v_mul_lo_u32 v4, s7, v2
	v_mad_u64_u32 v[0:1], null, s6, v2, 0
	v_mul_lo_u32 v5, s6, v3
	s_delay_alu instid0(VALU_DEP_2) | instskip(NEXT) | instid1(VALU_DEP_2)
	v_sub_co_u32 v0, vcc_lo, v6, v0
	v_add3_u32 v1, v1, v5, v4
	s_delay_alu instid0(VALU_DEP_1) | instskip(NEXT) | instid1(VALU_DEP_1)
	v_sub_nc_u32_e32 v4, v7, v1
	v_subrev_co_ci_u32_e64 v4, s2, s7, v4, vcc_lo
	v_add_co_u32 v5, s2, v2, 2
	s_delay_alu instid0(VALU_DEP_1) | instskip(SKIP_3) | instid1(VALU_DEP_3)
	v_add_co_ci_u32_e64 v8, s2, 0, v3, s2
	v_sub_co_u32 v9, s2, v0, s6
	v_sub_co_ci_u32_e32 v1, vcc_lo, v7, v1, vcc_lo
	v_subrev_co_ci_u32_e64 v4, s2, 0, v4, s2
	v_cmp_le_u32_e32 vcc_lo, s6, v9
	s_delay_alu instid0(VALU_DEP_3) | instskip(SKIP_1) | instid1(VALU_DEP_4)
	v_cmp_eq_u32_e64 s2, s7, v1
	v_cndmask_b32_e64 v9, 0, -1, vcc_lo
	v_cmp_le_u32_e32 vcc_lo, s7, v4
	v_cndmask_b32_e64 v10, 0, -1, vcc_lo
	v_cmp_le_u32_e32 vcc_lo, s6, v0
	;; [unrolled: 2-line block ×3, first 2 shown]
	v_cndmask_b32_e64 v11, 0, -1, vcc_lo
	v_cmp_eq_u32_e32 vcc_lo, s7, v4
	s_delay_alu instid0(VALU_DEP_2) | instskip(SKIP_3) | instid1(VALU_DEP_3)
	v_cndmask_b32_e64 v0, v11, v0, s2
	v_cndmask_b32_e32 v4, v10, v9, vcc_lo
	v_add_co_u32 v9, vcc_lo, v2, 1
	v_add_co_ci_u32_e32 v10, vcc_lo, 0, v3, vcc_lo
	v_cmp_ne_u32_e32 vcc_lo, 0, v4
	s_delay_alu instid0(VALU_DEP_2) | instskip(SKIP_1) | instid1(VALU_DEP_2)
	v_dual_cndmask_b32 v1, v10, v8 :: v_dual_cndmask_b32 v4, v9, v5
	v_cmp_ne_u32_e32 vcc_lo, 0, v0
	v_dual_cndmask_b32 v0, v3, v1 :: v_dual_cndmask_b32 v1, v2, v4
	s_delay_alu instid0(VALU_DEP_1) | instskip(NEXT) | instid1(VALU_DEP_2)
	v_xor_b32_e32 v2, s4, v0
	v_xor_b32_e32 v1, s4, v1
	s_delay_alu instid0(VALU_DEP_1) | instskip(NEXT) | instid1(VALU_DEP_3)
	v_sub_co_u32 v0, vcc_lo, v1, s4
	v_subrev_co_ci_u32_e32 v1, vcc_lo, s4, v2, vcc_lo
.LBB6_3:
	s_and_not1_saveexec_b32 s2, s11
	s_cbranch_execz .LBB6_5
; %bb.4:
	v_cvt_f32_u32_e32 v0, s10
	s_sub_i32 s4, 0, s10
	s_delay_alu instid0(VALU_DEP_1) | instskip(SKIP_2) | instid1(VALU_DEP_1)
	v_rcp_iflag_f32_e32 v0, v0
	s_waitcnt_depctr 0xfff
	v_mul_f32_e32 v0, 0x4f7ffffe, v0
	v_cvt_u32_f32_e32 v0, v0
	s_delay_alu instid0(VALU_DEP_1) | instskip(NEXT) | instid1(VALU_DEP_1)
	v_mul_lo_u32 v1, s4, v0
	v_mul_hi_u32 v1, v0, v1
	s_delay_alu instid0(VALU_DEP_1) | instskip(NEXT) | instid1(VALU_DEP_1)
	v_add_nc_u32_e32 v0, v0, v1
	v_mul_hi_u32 v0, v6, v0
	s_delay_alu instid0(VALU_DEP_1) | instskip(SKIP_1) | instid1(VALU_DEP_2)
	v_mul_lo_u32 v1, v0, s10
	v_add_nc_u32_e32 v2, 1, v0
	v_sub_nc_u32_e32 v1, v6, v1
	s_delay_alu instid0(VALU_DEP_1) | instskip(SKIP_1) | instid1(VALU_DEP_2)
	v_subrev_nc_u32_e32 v3, s10, v1
	v_cmp_le_u32_e32 vcc_lo, s10, v1
	v_dual_cndmask_b32 v1, v1, v3 :: v_dual_cndmask_b32 v0, v0, v2
	s_delay_alu instid0(VALU_DEP_1) | instskip(NEXT) | instid1(VALU_DEP_2)
	v_cmp_le_u32_e32 vcc_lo, s10, v1
	v_dual_mov_b32 v1, 0 :: v_dual_add_nc_u32 v2, 1, v0
	s_delay_alu instid0(VALU_DEP_1)
	v_cndmask_b32_e32 v0, v0, v2, vcc_lo
.LBB6_5:
	s_or_b32 exec_lo, exec_lo, s2
	s_delay_alu instid0(VALU_DEP_1) | instskip(NEXT) | instid1(VALU_DEP_2)
	v_mul_lo_u32 v4, s9, v0
	v_mul_lo_u32 v5, s10, v1
	v_mad_u64_u32 v[2:3], null, s10, v0, 0
	s_delay_alu instid0(VALU_DEP_1) | instskip(NEXT) | instid1(VALU_DEP_2)
	v_add3_u32 v3, v3, v5, v4
	v_sub_co_u32 v2, vcc_lo, v6, v2
	v_mov_b32_e32 v4, 0
	s_delay_alu instid0(VALU_DEP_3) | instskip(NEXT) | instid1(VALU_DEP_1)
	v_sub_co_ci_u32_e32 v3, vcc_lo, v7, v3, vcc_lo
	v_or_b32_e32 v5, s8, v3
	s_delay_alu instid0(VALU_DEP_1) | instskip(SKIP_1) | instid1(SALU_CYCLE_1)
	v_cmp_ne_u64_e32 vcc_lo, 0, v[4:5]
                                        ; implicit-def: $vgpr4_vgpr5
	s_and_saveexec_b32 s2, vcc_lo
	s_xor_b32 s9, exec_lo, s2
	s_cbranch_execz .LBB6_7
; %bb.6:
	s_ashr_i32 s4, s8, 31
	s_delay_alu instid0(SALU_CYCLE_1) | instskip(SKIP_2) | instid1(SALU_CYCLE_1)
	s_add_u32 s6, s3, s4
	s_mov_b32 s5, s4
	s_addc_u32 s7, s8, s4
	s_xor_b64 s[6:7], s[6:7], s[4:5]
	s_delay_alu instid0(SALU_CYCLE_1) | instskip(SKIP_3) | instid1(VALU_DEP_1)
	v_cvt_f32_u32_e32 v4, s6
	v_cvt_f32_u32_e32 v5, s7
	s_sub_u32 s2, 0, s6
	s_subb_u32 s5, 0, s7
	v_fmamk_f32 v4, v5, 0x4f800000, v4
	s_delay_alu instid0(VALU_DEP_1) | instskip(SKIP_2) | instid1(VALU_DEP_1)
	v_rcp_f32_e32 v4, v4
	s_waitcnt_depctr 0xfff
	v_mul_f32_e32 v4, 0x5f7ffffc, v4
	v_mul_f32_e32 v5, 0x2f800000, v4
	s_delay_alu instid0(VALU_DEP_1) | instskip(NEXT) | instid1(VALU_DEP_1)
	v_trunc_f32_e32 v5, v5
	v_fmamk_f32 v4, v5, 0xcf800000, v4
	v_cvt_u32_f32_e32 v5, v5
	s_delay_alu instid0(VALU_DEP_2) | instskip(NEXT) | instid1(VALU_DEP_2)
	v_cvt_u32_f32_e32 v4, v4
	v_mul_lo_u32 v8, s2, v5
	s_delay_alu instid0(VALU_DEP_2) | instskip(SKIP_1) | instid1(VALU_DEP_2)
	v_mul_hi_u32 v9, s2, v4
	v_mul_lo_u32 v10, s5, v4
	v_add_nc_u32_e32 v8, v9, v8
	v_mul_lo_u32 v9, s2, v4
	s_delay_alu instid0(VALU_DEP_2) | instskip(NEXT) | instid1(VALU_DEP_2)
	v_add_nc_u32_e32 v8, v8, v10
	v_mul_hi_u32 v10, v4, v9
	s_delay_alu instid0(VALU_DEP_2)
	v_mul_lo_u32 v11, v4, v8
	v_mul_hi_u32 v12, v4, v8
	v_mul_hi_u32 v13, v5, v9
	v_mul_lo_u32 v9, v5, v9
	v_mul_hi_u32 v14, v5, v8
	v_mul_lo_u32 v8, v5, v8
	v_add_co_u32 v10, vcc_lo, v10, v11
	v_add_co_ci_u32_e32 v11, vcc_lo, 0, v12, vcc_lo
	s_delay_alu instid0(VALU_DEP_2) | instskip(NEXT) | instid1(VALU_DEP_2)
	v_add_co_u32 v9, vcc_lo, v10, v9
	v_add_co_ci_u32_e32 v9, vcc_lo, v11, v13, vcc_lo
	v_add_co_ci_u32_e32 v10, vcc_lo, 0, v14, vcc_lo
	v_ashrrev_i32_e32 v13, 31, v3
	s_delay_alu instid0(VALU_DEP_3) | instskip(NEXT) | instid1(VALU_DEP_3)
	v_add_co_u32 v8, vcc_lo, v9, v8
	v_add_co_ci_u32_e32 v9, vcc_lo, 0, v10, vcc_lo
	s_delay_alu instid0(VALU_DEP_2) | instskip(NEXT) | instid1(VALU_DEP_2)
	v_add_co_u32 v4, vcc_lo, v4, v8
	v_add_co_ci_u32_e32 v5, vcc_lo, v5, v9, vcc_lo
	s_delay_alu instid0(VALU_DEP_2) | instskip(SKIP_1) | instid1(VALU_DEP_3)
	v_mul_hi_u32 v8, s2, v4
	v_mul_lo_u32 v10, s5, v4
	v_mul_lo_u32 v9, s2, v5
	s_delay_alu instid0(VALU_DEP_1) | instskip(SKIP_1) | instid1(VALU_DEP_2)
	v_add_nc_u32_e32 v8, v8, v9
	v_mul_lo_u32 v9, s2, v4
	v_add_nc_u32_e32 v8, v8, v10
	s_delay_alu instid0(VALU_DEP_2) | instskip(NEXT) | instid1(VALU_DEP_2)
	v_mul_hi_u32 v10, v4, v9
	v_mul_lo_u32 v11, v4, v8
	v_mul_hi_u32 v12, v4, v8
	v_mul_hi_u32 v14, v5, v9
	v_mul_lo_u32 v9, v5, v9
	v_mul_hi_u32 v15, v5, v8
	v_mul_lo_u32 v8, v5, v8
	v_add_co_u32 v10, vcc_lo, v10, v11
	v_add_co_ci_u32_e32 v11, vcc_lo, 0, v12, vcc_lo
	s_delay_alu instid0(VALU_DEP_2) | instskip(NEXT) | instid1(VALU_DEP_2)
	v_add_co_u32 v9, vcc_lo, v10, v9
	v_add_co_ci_u32_e32 v9, vcc_lo, v11, v14, vcc_lo
	v_add_co_ci_u32_e32 v10, vcc_lo, 0, v15, vcc_lo
	v_add_co_u32 v11, vcc_lo, v2, v13
	v_add_co_ci_u32_e32 v12, vcc_lo, v3, v13, vcc_lo
	s_delay_alu instid0(VALU_DEP_4) | instskip(NEXT) | instid1(VALU_DEP_4)
	v_add_co_u32 v8, vcc_lo, v9, v8
	v_add_co_ci_u32_e32 v9, vcc_lo, 0, v10, vcc_lo
	s_delay_alu instid0(VALU_DEP_4) | instskip(NEXT) | instid1(VALU_DEP_3)
	v_xor_b32_e32 v14, v11, v13
	v_add_co_u32 v10, vcc_lo, v4, v8
	s_delay_alu instid0(VALU_DEP_3) | instskip(SKIP_1) | instid1(VALU_DEP_3)
	v_add_co_ci_u32_e32 v15, vcc_lo, v5, v9, vcc_lo
	v_xor_b32_e32 v12, v12, v13
	v_mul_hi_u32 v16, v14, v10
	s_delay_alu instid0(VALU_DEP_3) | instskip(NEXT) | instid1(VALU_DEP_3)
	v_mad_u64_u32 v[4:5], null, v14, v15, 0
	v_mad_u64_u32 v[8:9], null, v12, v10, 0
	;; [unrolled: 1-line block ×3, first 2 shown]
	s_delay_alu instid0(VALU_DEP_3) | instskip(NEXT) | instid1(VALU_DEP_4)
	v_add_co_u32 v4, vcc_lo, v16, v4
	v_add_co_ci_u32_e32 v5, vcc_lo, 0, v5, vcc_lo
	s_delay_alu instid0(VALU_DEP_2) | instskip(NEXT) | instid1(VALU_DEP_2)
	v_add_co_u32 v4, vcc_lo, v4, v8
	v_add_co_ci_u32_e32 v4, vcc_lo, v5, v9, vcc_lo
	v_add_co_ci_u32_e32 v5, vcc_lo, 0, v11, vcc_lo
	s_delay_alu instid0(VALU_DEP_2) | instskip(NEXT) | instid1(VALU_DEP_2)
	v_add_co_u32 v8, vcc_lo, v4, v10
	v_add_co_ci_u32_e32 v9, vcc_lo, 0, v5, vcc_lo
	s_delay_alu instid0(VALU_DEP_2) | instskip(SKIP_1) | instid1(VALU_DEP_3)
	v_mul_lo_u32 v10, s7, v8
	v_mad_u64_u32 v[4:5], null, s6, v8, 0
	v_mul_lo_u32 v11, s6, v9
	s_delay_alu instid0(VALU_DEP_2) | instskip(NEXT) | instid1(VALU_DEP_2)
	v_sub_co_u32 v4, vcc_lo, v14, v4
	v_add3_u32 v5, v5, v11, v10
	s_delay_alu instid0(VALU_DEP_1) | instskip(NEXT) | instid1(VALU_DEP_1)
	v_sub_nc_u32_e32 v10, v12, v5
	v_subrev_co_ci_u32_e64 v10, s2, s7, v10, vcc_lo
	v_add_co_u32 v11, s2, v8, 2
	s_delay_alu instid0(VALU_DEP_1) | instskip(SKIP_3) | instid1(VALU_DEP_3)
	v_add_co_ci_u32_e64 v14, s2, 0, v9, s2
	v_sub_co_u32 v15, s2, v4, s6
	v_sub_co_ci_u32_e32 v5, vcc_lo, v12, v5, vcc_lo
	v_subrev_co_ci_u32_e64 v10, s2, 0, v10, s2
	v_cmp_le_u32_e32 vcc_lo, s6, v15
	s_delay_alu instid0(VALU_DEP_3) | instskip(SKIP_1) | instid1(VALU_DEP_4)
	v_cmp_eq_u32_e64 s2, s7, v5
	v_cndmask_b32_e64 v12, 0, -1, vcc_lo
	v_cmp_le_u32_e32 vcc_lo, s7, v10
	v_cndmask_b32_e64 v15, 0, -1, vcc_lo
	v_cmp_le_u32_e32 vcc_lo, s6, v4
	;; [unrolled: 2-line block ×3, first 2 shown]
	v_cndmask_b32_e64 v16, 0, -1, vcc_lo
	v_cmp_eq_u32_e32 vcc_lo, s7, v10
	s_delay_alu instid0(VALU_DEP_2) | instskip(SKIP_3) | instid1(VALU_DEP_3)
	v_cndmask_b32_e64 v4, v16, v4, s2
	v_cndmask_b32_e32 v10, v15, v12, vcc_lo
	v_add_co_u32 v12, vcc_lo, v8, 1
	v_add_co_ci_u32_e32 v15, vcc_lo, 0, v9, vcc_lo
	v_cmp_ne_u32_e32 vcc_lo, 0, v10
	s_delay_alu instid0(VALU_DEP_2) | instskip(SKIP_2) | instid1(VALU_DEP_3)
	v_dual_cndmask_b32 v5, v15, v14 :: v_dual_cndmask_b32 v10, v12, v11
	v_cmp_ne_u32_e32 vcc_lo, 0, v4
	v_xor_b32_e32 v11, s4, v13
	v_dual_cndmask_b32 v4, v9, v5 :: v_dual_cndmask_b32 v5, v8, v10
	s_delay_alu instid0(VALU_DEP_1) | instskip(NEXT) | instid1(VALU_DEP_2)
	v_xor_b32_e32 v8, v4, v11
	v_xor_b32_e32 v5, v5, v11
	s_delay_alu instid0(VALU_DEP_1) | instskip(NEXT) | instid1(VALU_DEP_3)
	v_sub_co_u32 v4, vcc_lo, v5, v11
	v_sub_co_ci_u32_e32 v5, vcc_lo, v8, v11, vcc_lo
.LBB6_7:
	s_and_not1_saveexec_b32 s2, s9
	s_cbranch_execz .LBB6_9
; %bb.8:
	v_cvt_f32_u32_e32 v4, s3
	s_sub_i32 s4, 0, s3
	s_delay_alu instid0(VALU_DEP_1) | instskip(SKIP_2) | instid1(VALU_DEP_1)
	v_rcp_iflag_f32_e32 v4, v4
	s_waitcnt_depctr 0xfff
	v_mul_f32_e32 v4, 0x4f7ffffe, v4
	v_cvt_u32_f32_e32 v4, v4
	s_delay_alu instid0(VALU_DEP_1) | instskip(NEXT) | instid1(VALU_DEP_1)
	v_mul_lo_u32 v5, s4, v4
	v_mul_hi_u32 v5, v4, v5
	s_delay_alu instid0(VALU_DEP_1) | instskip(NEXT) | instid1(VALU_DEP_1)
	v_add_nc_u32_e32 v4, v4, v5
	v_mul_hi_u32 v4, v2, v4
	s_delay_alu instid0(VALU_DEP_1) | instskip(SKIP_1) | instid1(VALU_DEP_2)
	v_mul_lo_u32 v5, v4, s3
	v_add_nc_u32_e32 v8, 1, v4
	v_sub_nc_u32_e32 v5, v2, v5
	s_delay_alu instid0(VALU_DEP_1) | instskip(SKIP_1) | instid1(VALU_DEP_2)
	v_subrev_nc_u32_e32 v9, s3, v5
	v_cmp_le_u32_e32 vcc_lo, s3, v5
	v_dual_cndmask_b32 v5, v5, v9 :: v_dual_cndmask_b32 v4, v4, v8
	s_delay_alu instid0(VALU_DEP_1) | instskip(NEXT) | instid1(VALU_DEP_2)
	v_cmp_le_u32_e32 vcc_lo, s3, v5
	v_dual_mov_b32 v5, 0 :: v_dual_add_nc_u32 v8, 1, v4
	s_delay_alu instid0(VALU_DEP_1)
	v_cndmask_b32_e32 v4, v4, v8, vcc_lo
.LBB6_9:
	s_or_b32 exec_lo, exec_lo, s2
	s_delay_alu instid0(VALU_DEP_1) | instskip(NEXT) | instid1(VALU_DEP_2)
	v_mul_lo_u32 v10, s8, v4
	v_mul_lo_u32 v11, s3, v5
	v_mad_u64_u32 v[8:9], null, s3, v4, 0
	s_delay_alu instid0(VALU_DEP_1) | instskip(NEXT) | instid1(VALU_DEP_2)
	v_add3_u32 v9, v9, v11, v10
	v_sub_co_u32 v12, vcc_lo, v2, v8
	v_mov_b32_e32 v2, 0
	s_delay_alu instid0(VALU_DEP_3) | instskip(NEXT) | instid1(VALU_DEP_1)
	v_sub_co_ci_u32_e32 v13, vcc_lo, v3, v9, vcc_lo
	v_or_b32_e32 v3, s23, v13
	s_delay_alu instid0(VALU_DEP_1) | instskip(SKIP_1) | instid1(SALU_CYCLE_1)
	v_cmp_ne_u64_e32 vcc_lo, 0, v[2:3]
                                        ; implicit-def: $vgpr2_vgpr3
	s_and_saveexec_b32 s2, vcc_lo
	s_xor_b32 s3, exec_lo, s2
	s_cbranch_execz .LBB6_11
; %bb.10:
	s_ashr_i32 s4, s23, 31
	s_delay_alu instid0(SALU_CYCLE_1) | instskip(SKIP_2) | instid1(SALU_CYCLE_1)
	s_add_u32 s6, s22, s4
	s_mov_b32 s5, s4
	s_addc_u32 s7, s23, s4
	s_xor_b64 s[6:7], s[6:7], s[4:5]
	s_delay_alu instid0(SALU_CYCLE_1) | instskip(SKIP_3) | instid1(VALU_DEP_1)
	v_cvt_f32_u32_e32 v2, s6
	v_cvt_f32_u32_e32 v3, s7
	s_sub_u32 s2, 0, s6
	s_subb_u32 s5, 0, s7
	v_fmamk_f32 v2, v3, 0x4f800000, v2
	s_delay_alu instid0(VALU_DEP_1) | instskip(SKIP_2) | instid1(VALU_DEP_1)
	v_rcp_f32_e32 v2, v2
	s_waitcnt_depctr 0xfff
	v_mul_f32_e32 v2, 0x5f7ffffc, v2
	v_mul_f32_e32 v3, 0x2f800000, v2
	s_delay_alu instid0(VALU_DEP_1) | instskip(NEXT) | instid1(VALU_DEP_1)
	v_trunc_f32_e32 v3, v3
	v_fmamk_f32 v2, v3, 0xcf800000, v2
	v_cvt_u32_f32_e32 v3, v3
	s_delay_alu instid0(VALU_DEP_2) | instskip(NEXT) | instid1(VALU_DEP_2)
	v_cvt_u32_f32_e32 v2, v2
	v_mul_lo_u32 v8, s2, v3
	s_delay_alu instid0(VALU_DEP_2) | instskip(SKIP_1) | instid1(VALU_DEP_2)
	v_mul_hi_u32 v9, s2, v2
	v_mul_lo_u32 v10, s5, v2
	v_add_nc_u32_e32 v8, v9, v8
	v_mul_lo_u32 v9, s2, v2
	s_delay_alu instid0(VALU_DEP_2) | instskip(NEXT) | instid1(VALU_DEP_2)
	v_add_nc_u32_e32 v8, v8, v10
	v_mul_hi_u32 v10, v2, v9
	s_delay_alu instid0(VALU_DEP_2)
	v_mul_lo_u32 v11, v2, v8
	v_mul_hi_u32 v14, v2, v8
	v_mul_hi_u32 v15, v3, v9
	v_mul_lo_u32 v9, v3, v9
	v_mul_hi_u32 v16, v3, v8
	v_mul_lo_u32 v8, v3, v8
	v_add_co_u32 v10, vcc_lo, v10, v11
	v_add_co_ci_u32_e32 v11, vcc_lo, 0, v14, vcc_lo
	s_delay_alu instid0(VALU_DEP_2) | instskip(NEXT) | instid1(VALU_DEP_2)
	v_add_co_u32 v9, vcc_lo, v10, v9
	v_add_co_ci_u32_e32 v9, vcc_lo, v11, v15, vcc_lo
	v_add_co_ci_u32_e32 v10, vcc_lo, 0, v16, vcc_lo
	v_ashrrev_i32_e32 v15, 31, v13
	s_delay_alu instid0(VALU_DEP_3) | instskip(NEXT) | instid1(VALU_DEP_3)
	v_add_co_u32 v8, vcc_lo, v9, v8
	v_add_co_ci_u32_e32 v9, vcc_lo, 0, v10, vcc_lo
	s_delay_alu instid0(VALU_DEP_2) | instskip(NEXT) | instid1(VALU_DEP_2)
	v_add_co_u32 v2, vcc_lo, v2, v8
	v_add_co_ci_u32_e32 v3, vcc_lo, v3, v9, vcc_lo
	s_delay_alu instid0(VALU_DEP_2) | instskip(SKIP_1) | instid1(VALU_DEP_3)
	v_mul_hi_u32 v8, s2, v2
	v_mul_lo_u32 v10, s5, v2
	v_mul_lo_u32 v9, s2, v3
	s_delay_alu instid0(VALU_DEP_1) | instskip(SKIP_1) | instid1(VALU_DEP_2)
	v_add_nc_u32_e32 v8, v8, v9
	v_mul_lo_u32 v9, s2, v2
	v_add_nc_u32_e32 v8, v8, v10
	s_delay_alu instid0(VALU_DEP_2) | instskip(NEXT) | instid1(VALU_DEP_2)
	v_mul_hi_u32 v10, v2, v9
	v_mul_lo_u32 v11, v2, v8
	v_mul_hi_u32 v14, v2, v8
	v_mul_hi_u32 v16, v3, v9
	v_mul_lo_u32 v9, v3, v9
	v_mul_hi_u32 v17, v3, v8
	v_mul_lo_u32 v8, v3, v8
	v_add_co_u32 v10, vcc_lo, v10, v11
	v_add_co_ci_u32_e32 v11, vcc_lo, 0, v14, vcc_lo
	s_delay_alu instid0(VALU_DEP_2) | instskip(NEXT) | instid1(VALU_DEP_2)
	v_add_co_u32 v9, vcc_lo, v10, v9
	v_add_co_ci_u32_e32 v9, vcc_lo, v11, v16, vcc_lo
	v_add_co_ci_u32_e32 v10, vcc_lo, 0, v17, vcc_lo
	v_add_co_u32 v11, vcc_lo, v12, v15
	v_add_co_ci_u32_e32 v14, vcc_lo, v13, v15, vcc_lo
	s_delay_alu instid0(VALU_DEP_4) | instskip(NEXT) | instid1(VALU_DEP_4)
	v_add_co_u32 v8, vcc_lo, v9, v8
	v_add_co_ci_u32_e32 v9, vcc_lo, 0, v10, vcc_lo
	s_delay_alu instid0(VALU_DEP_4) | instskip(NEXT) | instid1(VALU_DEP_3)
	v_xor_b32_e32 v16, v11, v15
	v_add_co_u32 v10, vcc_lo, v2, v8
	s_delay_alu instid0(VALU_DEP_3) | instskip(SKIP_1) | instid1(VALU_DEP_3)
	v_add_co_ci_u32_e32 v17, vcc_lo, v3, v9, vcc_lo
	v_xor_b32_e32 v14, v14, v15
	v_mul_hi_u32 v18, v16, v10
	s_delay_alu instid0(VALU_DEP_3) | instskip(NEXT) | instid1(VALU_DEP_3)
	v_mad_u64_u32 v[2:3], null, v16, v17, 0
	v_mad_u64_u32 v[8:9], null, v14, v10, 0
	;; [unrolled: 1-line block ×3, first 2 shown]
	s_delay_alu instid0(VALU_DEP_3) | instskip(NEXT) | instid1(VALU_DEP_4)
	v_add_co_u32 v2, vcc_lo, v18, v2
	v_add_co_ci_u32_e32 v3, vcc_lo, 0, v3, vcc_lo
	s_delay_alu instid0(VALU_DEP_2) | instskip(NEXT) | instid1(VALU_DEP_2)
	v_add_co_u32 v2, vcc_lo, v2, v8
	v_add_co_ci_u32_e32 v2, vcc_lo, v3, v9, vcc_lo
	v_add_co_ci_u32_e32 v3, vcc_lo, 0, v11, vcc_lo
	s_delay_alu instid0(VALU_DEP_2) | instskip(NEXT) | instid1(VALU_DEP_2)
	v_add_co_u32 v8, vcc_lo, v2, v10
	v_add_co_ci_u32_e32 v9, vcc_lo, 0, v3, vcc_lo
	s_delay_alu instid0(VALU_DEP_2) | instskip(SKIP_1) | instid1(VALU_DEP_3)
	v_mul_lo_u32 v10, s7, v8
	v_mad_u64_u32 v[2:3], null, s6, v8, 0
	v_mul_lo_u32 v11, s6, v9
	s_delay_alu instid0(VALU_DEP_2) | instskip(NEXT) | instid1(VALU_DEP_2)
	v_sub_co_u32 v2, vcc_lo, v16, v2
	v_add3_u32 v3, v3, v11, v10
	s_delay_alu instid0(VALU_DEP_1) | instskip(NEXT) | instid1(VALU_DEP_1)
	v_sub_nc_u32_e32 v10, v14, v3
	v_subrev_co_ci_u32_e64 v10, s2, s7, v10, vcc_lo
	v_add_co_u32 v11, s2, v8, 2
	s_delay_alu instid0(VALU_DEP_1) | instskip(SKIP_3) | instid1(VALU_DEP_3)
	v_add_co_ci_u32_e64 v16, s2, 0, v9, s2
	v_sub_co_u32 v17, s2, v2, s6
	v_sub_co_ci_u32_e32 v3, vcc_lo, v14, v3, vcc_lo
	v_subrev_co_ci_u32_e64 v10, s2, 0, v10, s2
	v_cmp_le_u32_e32 vcc_lo, s6, v17
	s_delay_alu instid0(VALU_DEP_3) | instskip(SKIP_1) | instid1(VALU_DEP_4)
	v_cmp_eq_u32_e64 s2, s7, v3
	v_cndmask_b32_e64 v14, 0, -1, vcc_lo
	v_cmp_le_u32_e32 vcc_lo, s7, v10
	v_cndmask_b32_e64 v17, 0, -1, vcc_lo
	v_cmp_le_u32_e32 vcc_lo, s6, v2
	;; [unrolled: 2-line block ×3, first 2 shown]
	v_cndmask_b32_e64 v18, 0, -1, vcc_lo
	v_cmp_eq_u32_e32 vcc_lo, s7, v10
	s_delay_alu instid0(VALU_DEP_2) | instskip(SKIP_3) | instid1(VALU_DEP_3)
	v_cndmask_b32_e64 v2, v18, v2, s2
	v_cndmask_b32_e32 v10, v17, v14, vcc_lo
	v_add_co_u32 v14, vcc_lo, v8, 1
	v_add_co_ci_u32_e32 v17, vcc_lo, 0, v9, vcc_lo
	v_cmp_ne_u32_e32 vcc_lo, 0, v10
	s_delay_alu instid0(VALU_DEP_2) | instskip(SKIP_2) | instid1(VALU_DEP_3)
	v_dual_cndmask_b32 v3, v17, v16 :: v_dual_cndmask_b32 v10, v14, v11
	v_cmp_ne_u32_e32 vcc_lo, 0, v2
	v_xor_b32_e32 v11, s4, v15
	v_dual_cndmask_b32 v2, v9, v3 :: v_dual_cndmask_b32 v3, v8, v10
	s_delay_alu instid0(VALU_DEP_1) | instskip(NEXT) | instid1(VALU_DEP_2)
	v_xor_b32_e32 v8, v2, v11
	v_xor_b32_e32 v3, v3, v11
	s_delay_alu instid0(VALU_DEP_1) | instskip(NEXT) | instid1(VALU_DEP_3)
	v_sub_co_u32 v2, vcc_lo, v3, v11
	v_sub_co_ci_u32_e32 v3, vcc_lo, v8, v11, vcc_lo
.LBB6_11:
	s_and_not1_saveexec_b32 s2, s3
	s_cbranch_execz .LBB6_13
; %bb.12:
	v_cvt_f32_u32_e32 v2, s22
	s_sub_i32 s3, 0, s22
	s_delay_alu instid0(VALU_DEP_1) | instskip(SKIP_2) | instid1(VALU_DEP_1)
	v_rcp_iflag_f32_e32 v2, v2
	s_waitcnt_depctr 0xfff
	v_mul_f32_e32 v2, 0x4f7ffffe, v2
	v_cvt_u32_f32_e32 v2, v2
	s_delay_alu instid0(VALU_DEP_1) | instskip(NEXT) | instid1(VALU_DEP_1)
	v_mul_lo_u32 v3, s3, v2
	v_mul_hi_u32 v3, v2, v3
	s_delay_alu instid0(VALU_DEP_1) | instskip(NEXT) | instid1(VALU_DEP_1)
	v_add_nc_u32_e32 v2, v2, v3
	v_mul_hi_u32 v2, v12, v2
	s_delay_alu instid0(VALU_DEP_1) | instskip(SKIP_1) | instid1(VALU_DEP_2)
	v_mul_lo_u32 v3, v2, s22
	v_add_nc_u32_e32 v8, 1, v2
	v_sub_nc_u32_e32 v3, v12, v3
	s_delay_alu instid0(VALU_DEP_1) | instskip(SKIP_1) | instid1(VALU_DEP_2)
	v_subrev_nc_u32_e32 v9, s22, v3
	v_cmp_le_u32_e32 vcc_lo, s22, v3
	v_dual_cndmask_b32 v3, v3, v9 :: v_dual_cndmask_b32 v2, v2, v8
	s_delay_alu instid0(VALU_DEP_1) | instskip(NEXT) | instid1(VALU_DEP_2)
	v_cmp_le_u32_e32 vcc_lo, s22, v3
	v_dual_mov_b32 v3, 0 :: v_dual_add_nc_u32 v8, 1, v2
	s_delay_alu instid0(VALU_DEP_1)
	v_cndmask_b32_e32 v2, v2, v8, vcc_lo
.LBB6_13:
	s_or_b32 exec_lo, exec_lo, s2
	s_load_b512 s[36:51], s[0:1], 0x40
	v_mov_b32_e32 v8, 0
	s_waitcnt lgkmcnt(0)
	s_mul_i32 s2, s42, s41
	s_mul_hi_u32 s4, s42, s40
	s_mul_i32 s5, s43, s40
	s_mul_i32 s3, s42, s40
	s_add_i32 s8, s4, s2
	s_mul_i32 s2, s3, s45
	s_mul_hi_u32 s4, s3, s44
	s_add_i32 s8, s8, s5
	s_add_i32 s2, s4, s2
	s_mul_i32 s4, s8, s44
	s_mul_i32 s10, s3, s44
	s_add_i32 s9, s2, s4
	s_delay_alu instid0(SALU_CYCLE_1) | instskip(NEXT) | instid1(VALU_DEP_1)
	v_or_b32_e32 v9, s9, v7
	v_cmp_ne_u64_e32 vcc_lo, 0, v[8:9]
                                        ; implicit-def: $vgpr8_vgpr9
	s_and_saveexec_b32 s2, vcc_lo
	s_delay_alu instid0(SALU_CYCLE_1)
	s_xor_b32 s11, exec_lo, s2
	s_cbranch_execz .LBB6_15
; %bb.14:
	s_ashr_i32 s4, s9, 31
	s_delay_alu instid0(SALU_CYCLE_1) | instskip(SKIP_2) | instid1(SALU_CYCLE_1)
	s_add_u32 s6, s10, s4
	s_mov_b32 s5, s4
	s_addc_u32 s7, s9, s4
	s_xor_b64 s[6:7], s[6:7], s[4:5]
	s_delay_alu instid0(SALU_CYCLE_1) | instskip(SKIP_3) | instid1(VALU_DEP_1)
	v_cvt_f32_u32_e32 v8, s6
	v_cvt_f32_u32_e32 v9, s7
	s_sub_u32 s2, 0, s6
	s_subb_u32 s5, 0, s7
	v_fmamk_f32 v8, v9, 0x4f800000, v8
	s_delay_alu instid0(VALU_DEP_1) | instskip(SKIP_2) | instid1(VALU_DEP_1)
	v_rcp_f32_e32 v8, v8
	s_waitcnt_depctr 0xfff
	v_mul_f32_e32 v8, 0x5f7ffffc, v8
	v_mul_f32_e32 v9, 0x2f800000, v8
	s_delay_alu instid0(VALU_DEP_1) | instskip(NEXT) | instid1(VALU_DEP_1)
	v_trunc_f32_e32 v9, v9
	v_fmamk_f32 v8, v9, 0xcf800000, v8
	v_cvt_u32_f32_e32 v9, v9
	s_delay_alu instid0(VALU_DEP_2) | instskip(NEXT) | instid1(VALU_DEP_2)
	v_cvt_u32_f32_e32 v8, v8
	v_mul_lo_u32 v10, s2, v9
	s_delay_alu instid0(VALU_DEP_2) | instskip(SKIP_1) | instid1(VALU_DEP_2)
	v_mul_hi_u32 v11, s2, v8
	v_mul_lo_u32 v14, s5, v8
	v_add_nc_u32_e32 v10, v11, v10
	v_mul_lo_u32 v11, s2, v8
	s_delay_alu instid0(VALU_DEP_2) | instskip(NEXT) | instid1(VALU_DEP_2)
	v_add_nc_u32_e32 v10, v10, v14
	v_mul_hi_u32 v14, v8, v11
	s_delay_alu instid0(VALU_DEP_2)
	v_mul_lo_u32 v15, v8, v10
	v_mul_hi_u32 v16, v8, v10
	v_mul_hi_u32 v17, v9, v11
	v_mul_lo_u32 v11, v9, v11
	v_mul_hi_u32 v18, v9, v10
	v_mul_lo_u32 v10, v9, v10
	v_add_co_u32 v14, vcc_lo, v14, v15
	v_add_co_ci_u32_e32 v15, vcc_lo, 0, v16, vcc_lo
	s_delay_alu instid0(VALU_DEP_2) | instskip(NEXT) | instid1(VALU_DEP_2)
	v_add_co_u32 v11, vcc_lo, v14, v11
	v_add_co_ci_u32_e32 v11, vcc_lo, v15, v17, vcc_lo
	v_add_co_ci_u32_e32 v14, vcc_lo, 0, v18, vcc_lo
	s_delay_alu instid0(VALU_DEP_2) | instskip(NEXT) | instid1(VALU_DEP_2)
	v_add_co_u32 v10, vcc_lo, v11, v10
	v_add_co_ci_u32_e32 v11, vcc_lo, 0, v14, vcc_lo
	s_delay_alu instid0(VALU_DEP_2) | instskip(NEXT) | instid1(VALU_DEP_2)
	v_add_co_u32 v8, vcc_lo, v8, v10
	v_add_co_ci_u32_e32 v9, vcc_lo, v9, v11, vcc_lo
	s_delay_alu instid0(VALU_DEP_2) | instskip(SKIP_1) | instid1(VALU_DEP_3)
	v_mul_hi_u32 v10, s2, v8
	v_mul_lo_u32 v14, s5, v8
	v_mul_lo_u32 v11, s2, v9
	s_delay_alu instid0(VALU_DEP_1) | instskip(SKIP_1) | instid1(VALU_DEP_2)
	v_add_nc_u32_e32 v10, v10, v11
	v_mul_lo_u32 v11, s2, v8
	v_add_nc_u32_e32 v10, v10, v14
	s_delay_alu instid0(VALU_DEP_2) | instskip(NEXT) | instid1(VALU_DEP_2)
	v_mul_hi_u32 v14, v8, v11
	v_mul_lo_u32 v15, v8, v10
	v_mul_hi_u32 v16, v8, v10
	v_mul_hi_u32 v17, v9, v11
	v_mul_lo_u32 v11, v9, v11
	v_mul_hi_u32 v18, v9, v10
	v_mul_lo_u32 v10, v9, v10
	v_add_co_u32 v14, vcc_lo, v14, v15
	v_add_co_ci_u32_e32 v15, vcc_lo, 0, v16, vcc_lo
	s_delay_alu instid0(VALU_DEP_2) | instskip(NEXT) | instid1(VALU_DEP_2)
	v_add_co_u32 v11, vcc_lo, v14, v11
	v_add_co_ci_u32_e32 v11, vcc_lo, v15, v17, vcc_lo
	v_add_co_ci_u32_e32 v14, vcc_lo, 0, v18, vcc_lo
	s_delay_alu instid0(VALU_DEP_2) | instskip(NEXT) | instid1(VALU_DEP_2)
	v_add_co_u32 v10, vcc_lo, v11, v10
	v_add_co_ci_u32_e32 v11, vcc_lo, 0, v14, vcc_lo
	s_delay_alu instid0(VALU_DEP_2) | instskip(NEXT) | instid1(VALU_DEP_2)
	v_add_co_u32 v14, vcc_lo, v8, v10
	v_add_co_ci_u32_e32 v16, vcc_lo, v9, v11, vcc_lo
	s_delay_alu instid0(VALU_DEP_2) | instskip(SKIP_1) | instid1(VALU_DEP_3)
	v_mul_hi_u32 v17, v6, v14
	v_mad_u64_u32 v[10:11], null, v7, v14, 0
	v_mad_u64_u32 v[8:9], null, v6, v16, 0
	v_mad_u64_u32 v[14:15], null, v7, v16, 0
	s_delay_alu instid0(VALU_DEP_2) | instskip(NEXT) | instid1(VALU_DEP_3)
	v_add_co_u32 v8, vcc_lo, v17, v8
	v_add_co_ci_u32_e32 v9, vcc_lo, 0, v9, vcc_lo
	s_delay_alu instid0(VALU_DEP_2) | instskip(NEXT) | instid1(VALU_DEP_2)
	v_add_co_u32 v8, vcc_lo, v8, v10
	v_add_co_ci_u32_e32 v8, vcc_lo, v9, v11, vcc_lo
	v_add_co_ci_u32_e32 v9, vcc_lo, 0, v15, vcc_lo
	s_delay_alu instid0(VALU_DEP_2) | instskip(NEXT) | instid1(VALU_DEP_2)
	v_add_co_u32 v10, vcc_lo, v8, v14
	v_add_co_ci_u32_e32 v11, vcc_lo, 0, v9, vcc_lo
	s_delay_alu instid0(VALU_DEP_2) | instskip(SKIP_1) | instid1(VALU_DEP_3)
	v_mul_lo_u32 v14, s7, v10
	v_mad_u64_u32 v[8:9], null, s6, v10, 0
	v_mul_lo_u32 v15, s6, v11
	s_delay_alu instid0(VALU_DEP_2) | instskip(NEXT) | instid1(VALU_DEP_2)
	v_sub_co_u32 v8, vcc_lo, v6, v8
	v_add3_u32 v9, v9, v15, v14
	s_delay_alu instid0(VALU_DEP_1) | instskip(NEXT) | instid1(VALU_DEP_1)
	v_sub_nc_u32_e32 v14, v7, v9
	v_subrev_co_ci_u32_e64 v14, s2, s7, v14, vcc_lo
	v_add_co_u32 v15, s2, v10, 2
	s_delay_alu instid0(VALU_DEP_1) | instskip(SKIP_3) | instid1(VALU_DEP_3)
	v_add_co_ci_u32_e64 v16, s2, 0, v11, s2
	v_sub_co_u32 v17, s2, v8, s6
	v_sub_co_ci_u32_e32 v9, vcc_lo, v7, v9, vcc_lo
	v_subrev_co_ci_u32_e64 v14, s2, 0, v14, s2
	v_cmp_le_u32_e32 vcc_lo, s6, v17
	s_delay_alu instid0(VALU_DEP_3) | instskip(SKIP_1) | instid1(VALU_DEP_4)
	v_cmp_eq_u32_e64 s2, s7, v9
	v_cndmask_b32_e64 v17, 0, -1, vcc_lo
	v_cmp_le_u32_e32 vcc_lo, s7, v14
	v_cndmask_b32_e64 v18, 0, -1, vcc_lo
	v_cmp_le_u32_e32 vcc_lo, s6, v8
	;; [unrolled: 2-line block ×3, first 2 shown]
	v_cndmask_b32_e64 v19, 0, -1, vcc_lo
	v_cmp_eq_u32_e32 vcc_lo, s7, v14
	s_delay_alu instid0(VALU_DEP_2) | instskip(SKIP_3) | instid1(VALU_DEP_3)
	v_cndmask_b32_e64 v8, v19, v8, s2
	v_cndmask_b32_e32 v14, v18, v17, vcc_lo
	v_add_co_u32 v17, vcc_lo, v10, 1
	v_add_co_ci_u32_e32 v18, vcc_lo, 0, v11, vcc_lo
	v_cmp_ne_u32_e32 vcc_lo, 0, v14
	s_delay_alu instid0(VALU_DEP_2) | instskip(SKIP_1) | instid1(VALU_DEP_2)
	v_dual_cndmask_b32 v9, v18, v16 :: v_dual_cndmask_b32 v14, v17, v15
	v_cmp_ne_u32_e32 vcc_lo, 0, v8
	v_dual_cndmask_b32 v8, v11, v9 :: v_dual_cndmask_b32 v9, v10, v14
	s_delay_alu instid0(VALU_DEP_1) | instskip(NEXT) | instid1(VALU_DEP_2)
	v_xor_b32_e32 v10, s4, v8
	v_xor_b32_e32 v9, s4, v9
	s_delay_alu instid0(VALU_DEP_1) | instskip(NEXT) | instid1(VALU_DEP_3)
	v_sub_co_u32 v8, vcc_lo, v9, s4
	v_subrev_co_ci_u32_e32 v9, vcc_lo, s4, v10, vcc_lo
.LBB6_15:
	s_and_not1_saveexec_b32 s2, s11
	s_cbranch_execz .LBB6_17
; %bb.16:
	v_cvt_f32_u32_e32 v8, s10
	s_sub_i32 s4, 0, s10
	s_delay_alu instid0(VALU_DEP_1) | instskip(SKIP_2) | instid1(VALU_DEP_1)
	v_rcp_iflag_f32_e32 v8, v8
	s_waitcnt_depctr 0xfff
	v_mul_f32_e32 v8, 0x4f7ffffe, v8
	v_cvt_u32_f32_e32 v8, v8
	s_delay_alu instid0(VALU_DEP_1) | instskip(NEXT) | instid1(VALU_DEP_1)
	v_mul_lo_u32 v9, s4, v8
	v_mul_hi_u32 v9, v8, v9
	s_delay_alu instid0(VALU_DEP_1) | instskip(NEXT) | instid1(VALU_DEP_1)
	v_add_nc_u32_e32 v8, v8, v9
	v_mul_hi_u32 v8, v6, v8
	s_delay_alu instid0(VALU_DEP_1) | instskip(SKIP_1) | instid1(VALU_DEP_2)
	v_mul_lo_u32 v9, v8, s10
	v_add_nc_u32_e32 v10, 1, v8
	v_sub_nc_u32_e32 v9, v6, v9
	s_delay_alu instid0(VALU_DEP_1) | instskip(SKIP_1) | instid1(VALU_DEP_2)
	v_subrev_nc_u32_e32 v11, s10, v9
	v_cmp_le_u32_e32 vcc_lo, s10, v9
	v_dual_cndmask_b32 v9, v9, v11 :: v_dual_cndmask_b32 v8, v8, v10
	s_delay_alu instid0(VALU_DEP_1) | instskip(NEXT) | instid1(VALU_DEP_2)
	v_cmp_le_u32_e32 vcc_lo, s10, v9
	v_dual_mov_b32 v9, 0 :: v_dual_add_nc_u32 v10, 1, v8
	s_delay_alu instid0(VALU_DEP_1)
	v_cndmask_b32_e32 v8, v8, v10, vcc_lo
.LBB6_17:
	s_or_b32 exec_lo, exec_lo, s2
	s_delay_alu instid0(VALU_DEP_1) | instskip(NEXT) | instid1(VALU_DEP_2)
	v_mul_lo_u32 v14, s9, v8
	v_mul_lo_u32 v15, s10, v9
	v_mad_u64_u32 v[10:11], null, s10, v8, 0
	s_delay_alu instid0(VALU_DEP_1) | instskip(NEXT) | instid1(VALU_DEP_2)
	v_add3_u32 v11, v11, v15, v14
	v_sub_co_u32 v10, vcc_lo, v6, v10
	v_mov_b32_e32 v6, 0
	s_delay_alu instid0(VALU_DEP_3) | instskip(NEXT) | instid1(VALU_DEP_1)
	v_sub_co_ci_u32_e32 v11, vcc_lo, v7, v11, vcc_lo
	v_or_b32_e32 v7, s8, v11
	s_delay_alu instid0(VALU_DEP_1) | instskip(SKIP_1) | instid1(SALU_CYCLE_1)
	v_cmp_ne_u64_e32 vcc_lo, 0, v[6:7]
                                        ; implicit-def: $vgpr6_vgpr7
	s_and_saveexec_b32 s2, vcc_lo
	s_xor_b32 s9, exec_lo, s2
	s_cbranch_execz .LBB6_19
; %bb.18:
	s_ashr_i32 s4, s8, 31
	s_delay_alu instid0(SALU_CYCLE_1) | instskip(SKIP_2) | instid1(SALU_CYCLE_1)
	s_add_u32 s6, s3, s4
	s_mov_b32 s5, s4
	s_addc_u32 s7, s8, s4
	s_xor_b64 s[6:7], s[6:7], s[4:5]
	s_delay_alu instid0(SALU_CYCLE_1) | instskip(SKIP_3) | instid1(VALU_DEP_1)
	v_cvt_f32_u32_e32 v6, s6
	v_cvt_f32_u32_e32 v7, s7
	s_sub_u32 s2, 0, s6
	s_subb_u32 s5, 0, s7
	v_fmamk_f32 v6, v7, 0x4f800000, v6
	s_delay_alu instid0(VALU_DEP_1) | instskip(SKIP_2) | instid1(VALU_DEP_1)
	v_rcp_f32_e32 v6, v6
	s_waitcnt_depctr 0xfff
	v_mul_f32_e32 v6, 0x5f7ffffc, v6
	v_mul_f32_e32 v7, 0x2f800000, v6
	s_delay_alu instid0(VALU_DEP_1) | instskip(NEXT) | instid1(VALU_DEP_1)
	v_trunc_f32_e32 v7, v7
	v_fmamk_f32 v6, v7, 0xcf800000, v6
	v_cvt_u32_f32_e32 v7, v7
	s_delay_alu instid0(VALU_DEP_2) | instskip(NEXT) | instid1(VALU_DEP_2)
	v_cvt_u32_f32_e32 v6, v6
	v_mul_lo_u32 v14, s2, v7
	s_delay_alu instid0(VALU_DEP_2) | instskip(SKIP_1) | instid1(VALU_DEP_2)
	v_mul_hi_u32 v15, s2, v6
	v_mul_lo_u32 v16, s5, v6
	v_add_nc_u32_e32 v14, v15, v14
	v_mul_lo_u32 v15, s2, v6
	s_delay_alu instid0(VALU_DEP_2) | instskip(NEXT) | instid1(VALU_DEP_2)
	v_add_nc_u32_e32 v14, v14, v16
	v_mul_hi_u32 v16, v6, v15
	s_delay_alu instid0(VALU_DEP_2)
	v_mul_lo_u32 v17, v6, v14
	v_mul_hi_u32 v18, v6, v14
	v_mul_hi_u32 v19, v7, v15
	v_mul_lo_u32 v15, v7, v15
	v_mul_hi_u32 v20, v7, v14
	v_mul_lo_u32 v14, v7, v14
	v_add_co_u32 v16, vcc_lo, v16, v17
	v_add_co_ci_u32_e32 v17, vcc_lo, 0, v18, vcc_lo
	s_delay_alu instid0(VALU_DEP_2) | instskip(NEXT) | instid1(VALU_DEP_2)
	v_add_co_u32 v15, vcc_lo, v16, v15
	v_add_co_ci_u32_e32 v15, vcc_lo, v17, v19, vcc_lo
	v_add_co_ci_u32_e32 v16, vcc_lo, 0, v20, vcc_lo
	v_ashrrev_i32_e32 v19, 31, v11
	s_delay_alu instid0(VALU_DEP_3) | instskip(NEXT) | instid1(VALU_DEP_3)
	v_add_co_u32 v14, vcc_lo, v15, v14
	v_add_co_ci_u32_e32 v15, vcc_lo, 0, v16, vcc_lo
	s_delay_alu instid0(VALU_DEP_2) | instskip(NEXT) | instid1(VALU_DEP_2)
	v_add_co_u32 v6, vcc_lo, v6, v14
	v_add_co_ci_u32_e32 v7, vcc_lo, v7, v15, vcc_lo
	s_delay_alu instid0(VALU_DEP_2) | instskip(SKIP_1) | instid1(VALU_DEP_3)
	v_mul_hi_u32 v14, s2, v6
	v_mul_lo_u32 v16, s5, v6
	v_mul_lo_u32 v15, s2, v7
	s_delay_alu instid0(VALU_DEP_1) | instskip(SKIP_1) | instid1(VALU_DEP_2)
	v_add_nc_u32_e32 v14, v14, v15
	v_mul_lo_u32 v15, s2, v6
	v_add_nc_u32_e32 v14, v14, v16
	s_delay_alu instid0(VALU_DEP_2) | instskip(NEXT) | instid1(VALU_DEP_2)
	v_mul_hi_u32 v16, v6, v15
	v_mul_lo_u32 v17, v6, v14
	v_mul_hi_u32 v18, v6, v14
	v_mul_hi_u32 v20, v7, v15
	v_mul_lo_u32 v15, v7, v15
	v_mul_hi_u32 v21, v7, v14
	v_mul_lo_u32 v14, v7, v14
	v_add_co_u32 v16, vcc_lo, v16, v17
	v_add_co_ci_u32_e32 v17, vcc_lo, 0, v18, vcc_lo
	s_delay_alu instid0(VALU_DEP_2) | instskip(NEXT) | instid1(VALU_DEP_2)
	v_add_co_u32 v15, vcc_lo, v16, v15
	v_add_co_ci_u32_e32 v15, vcc_lo, v17, v20, vcc_lo
	v_add_co_ci_u32_e32 v16, vcc_lo, 0, v21, vcc_lo
	v_add_co_u32 v17, vcc_lo, v10, v19
	v_add_co_ci_u32_e32 v18, vcc_lo, v11, v19, vcc_lo
	s_delay_alu instid0(VALU_DEP_4) | instskip(NEXT) | instid1(VALU_DEP_4)
	v_add_co_u32 v14, vcc_lo, v15, v14
	v_add_co_ci_u32_e32 v15, vcc_lo, 0, v16, vcc_lo
	s_delay_alu instid0(VALU_DEP_4) | instskip(NEXT) | instid1(VALU_DEP_3)
	v_xor_b32_e32 v20, v17, v19
	v_add_co_u32 v16, vcc_lo, v6, v14
	s_delay_alu instid0(VALU_DEP_3) | instskip(SKIP_1) | instid1(VALU_DEP_3)
	v_add_co_ci_u32_e32 v21, vcc_lo, v7, v15, vcc_lo
	v_xor_b32_e32 v18, v18, v19
	v_mul_hi_u32 v22, v20, v16
	s_delay_alu instid0(VALU_DEP_3) | instskip(NEXT) | instid1(VALU_DEP_3)
	v_mad_u64_u32 v[6:7], null, v20, v21, 0
	v_mad_u64_u32 v[14:15], null, v18, v16, 0
	;; [unrolled: 1-line block ×3, first 2 shown]
	s_delay_alu instid0(VALU_DEP_3) | instskip(NEXT) | instid1(VALU_DEP_4)
	v_add_co_u32 v6, vcc_lo, v22, v6
	v_add_co_ci_u32_e32 v7, vcc_lo, 0, v7, vcc_lo
	s_delay_alu instid0(VALU_DEP_2) | instskip(NEXT) | instid1(VALU_DEP_2)
	v_add_co_u32 v6, vcc_lo, v6, v14
	v_add_co_ci_u32_e32 v6, vcc_lo, v7, v15, vcc_lo
	v_add_co_ci_u32_e32 v7, vcc_lo, 0, v17, vcc_lo
	s_delay_alu instid0(VALU_DEP_2) | instskip(NEXT) | instid1(VALU_DEP_2)
	v_add_co_u32 v14, vcc_lo, v6, v16
	v_add_co_ci_u32_e32 v15, vcc_lo, 0, v7, vcc_lo
	s_delay_alu instid0(VALU_DEP_2) | instskip(SKIP_1) | instid1(VALU_DEP_3)
	v_mul_lo_u32 v16, s7, v14
	v_mad_u64_u32 v[6:7], null, s6, v14, 0
	v_mul_lo_u32 v17, s6, v15
	s_delay_alu instid0(VALU_DEP_2) | instskip(NEXT) | instid1(VALU_DEP_2)
	v_sub_co_u32 v6, vcc_lo, v20, v6
	v_add3_u32 v7, v7, v17, v16
	s_delay_alu instid0(VALU_DEP_1) | instskip(NEXT) | instid1(VALU_DEP_1)
	v_sub_nc_u32_e32 v16, v18, v7
	v_subrev_co_ci_u32_e64 v16, s2, s7, v16, vcc_lo
	v_add_co_u32 v17, s2, v14, 2
	s_delay_alu instid0(VALU_DEP_1) | instskip(SKIP_3) | instid1(VALU_DEP_3)
	v_add_co_ci_u32_e64 v20, s2, 0, v15, s2
	v_sub_co_u32 v21, s2, v6, s6
	v_sub_co_ci_u32_e32 v7, vcc_lo, v18, v7, vcc_lo
	v_subrev_co_ci_u32_e64 v16, s2, 0, v16, s2
	v_cmp_le_u32_e32 vcc_lo, s6, v21
	s_delay_alu instid0(VALU_DEP_3) | instskip(SKIP_1) | instid1(VALU_DEP_4)
	v_cmp_eq_u32_e64 s2, s7, v7
	v_cndmask_b32_e64 v18, 0, -1, vcc_lo
	v_cmp_le_u32_e32 vcc_lo, s7, v16
	v_cndmask_b32_e64 v21, 0, -1, vcc_lo
	v_cmp_le_u32_e32 vcc_lo, s6, v6
	;; [unrolled: 2-line block ×3, first 2 shown]
	v_cndmask_b32_e64 v22, 0, -1, vcc_lo
	v_cmp_eq_u32_e32 vcc_lo, s7, v16
	s_delay_alu instid0(VALU_DEP_2) | instskip(SKIP_3) | instid1(VALU_DEP_3)
	v_cndmask_b32_e64 v6, v22, v6, s2
	v_cndmask_b32_e32 v16, v21, v18, vcc_lo
	v_add_co_u32 v18, vcc_lo, v14, 1
	v_add_co_ci_u32_e32 v21, vcc_lo, 0, v15, vcc_lo
	v_cmp_ne_u32_e32 vcc_lo, 0, v16
	s_delay_alu instid0(VALU_DEP_2) | instskip(SKIP_2) | instid1(VALU_DEP_3)
	v_dual_cndmask_b32 v7, v21, v20 :: v_dual_cndmask_b32 v16, v18, v17
	v_cmp_ne_u32_e32 vcc_lo, 0, v6
	v_xor_b32_e32 v17, s4, v19
	v_dual_cndmask_b32 v6, v15, v7 :: v_dual_cndmask_b32 v7, v14, v16
	s_delay_alu instid0(VALU_DEP_1) | instskip(NEXT) | instid1(VALU_DEP_2)
	v_xor_b32_e32 v14, v6, v17
	v_xor_b32_e32 v7, v7, v17
	s_delay_alu instid0(VALU_DEP_1) | instskip(NEXT) | instid1(VALU_DEP_3)
	v_sub_co_u32 v6, vcc_lo, v7, v17
	v_sub_co_ci_u32_e32 v7, vcc_lo, v14, v17, vcc_lo
.LBB6_19:
	s_and_not1_saveexec_b32 s2, s9
	s_cbranch_execz .LBB6_21
; %bb.20:
	v_cvt_f32_u32_e32 v6, s3
	s_sub_i32 s4, 0, s3
	s_delay_alu instid0(VALU_DEP_1) | instskip(SKIP_2) | instid1(VALU_DEP_1)
	v_rcp_iflag_f32_e32 v6, v6
	s_waitcnt_depctr 0xfff
	v_mul_f32_e32 v6, 0x4f7ffffe, v6
	v_cvt_u32_f32_e32 v6, v6
	s_delay_alu instid0(VALU_DEP_1) | instskip(NEXT) | instid1(VALU_DEP_1)
	v_mul_lo_u32 v7, s4, v6
	v_mul_hi_u32 v7, v6, v7
	s_delay_alu instid0(VALU_DEP_1) | instskip(NEXT) | instid1(VALU_DEP_1)
	v_add_nc_u32_e32 v6, v6, v7
	v_mul_hi_u32 v6, v10, v6
	s_delay_alu instid0(VALU_DEP_1) | instskip(SKIP_1) | instid1(VALU_DEP_2)
	v_mul_lo_u32 v7, v6, s3
	v_add_nc_u32_e32 v14, 1, v6
	v_sub_nc_u32_e32 v7, v10, v7
	s_delay_alu instid0(VALU_DEP_1) | instskip(SKIP_1) | instid1(VALU_DEP_2)
	v_subrev_nc_u32_e32 v15, s3, v7
	v_cmp_le_u32_e32 vcc_lo, s3, v7
	v_dual_cndmask_b32 v7, v7, v15 :: v_dual_cndmask_b32 v6, v6, v14
	s_delay_alu instid0(VALU_DEP_1) | instskip(NEXT) | instid1(VALU_DEP_2)
	v_cmp_le_u32_e32 vcc_lo, s3, v7
	v_dual_mov_b32 v7, 0 :: v_dual_add_nc_u32 v14, 1, v6
	s_delay_alu instid0(VALU_DEP_1)
	v_cndmask_b32_e32 v6, v6, v14, vcc_lo
.LBB6_21:
	s_or_b32 exec_lo, exec_lo, s2
	s_delay_alu instid0(VALU_DEP_1) | instskip(NEXT) | instid1(VALU_DEP_2)
	v_mul_lo_u32 v16, s8, v6
	v_mul_lo_u32 v17, s3, v7
	v_mad_u64_u32 v[14:15], null, s3, v6, 0
	s_delay_alu instid0(VALU_DEP_1) | instskip(NEXT) | instid1(VALU_DEP_2)
	v_add3_u32 v15, v15, v17, v16
	v_sub_co_u32 v14, vcc_lo, v10, v14
	v_mov_b32_e32 v10, 0
	s_delay_alu instid0(VALU_DEP_3) | instskip(NEXT) | instid1(VALU_DEP_1)
	v_sub_co_ci_u32_e32 v15, vcc_lo, v11, v15, vcc_lo
	v_or_b32_e32 v11, s41, v15
	s_delay_alu instid0(VALU_DEP_1) | instskip(SKIP_1) | instid1(SALU_CYCLE_1)
	v_cmp_ne_u64_e32 vcc_lo, 0, v[10:11]
                                        ; implicit-def: $vgpr10_vgpr11
	s_and_saveexec_b32 s2, vcc_lo
	s_xor_b32 s3, exec_lo, s2
	s_cbranch_execz .LBB6_23
; %bb.22:
	s_ashr_i32 s4, s41, 31
	s_delay_alu instid0(SALU_CYCLE_1) | instskip(SKIP_2) | instid1(SALU_CYCLE_1)
	s_add_u32 s6, s40, s4
	s_mov_b32 s5, s4
	s_addc_u32 s7, s41, s4
	s_xor_b64 s[6:7], s[6:7], s[4:5]
	s_delay_alu instid0(SALU_CYCLE_1) | instskip(SKIP_3) | instid1(VALU_DEP_1)
	v_cvt_f32_u32_e32 v10, s6
	v_cvt_f32_u32_e32 v11, s7
	s_sub_u32 s2, 0, s6
	s_subb_u32 s5, 0, s7
	v_fmamk_f32 v10, v11, 0x4f800000, v10
	s_delay_alu instid0(VALU_DEP_1) | instskip(SKIP_2) | instid1(VALU_DEP_1)
	v_rcp_f32_e32 v10, v10
	s_waitcnt_depctr 0xfff
	v_mul_f32_e32 v10, 0x5f7ffffc, v10
	v_mul_f32_e32 v11, 0x2f800000, v10
	s_delay_alu instid0(VALU_DEP_1) | instskip(NEXT) | instid1(VALU_DEP_1)
	v_trunc_f32_e32 v11, v11
	v_fmamk_f32 v10, v11, 0xcf800000, v10
	v_cvt_u32_f32_e32 v11, v11
	s_delay_alu instid0(VALU_DEP_2) | instskip(NEXT) | instid1(VALU_DEP_2)
	v_cvt_u32_f32_e32 v10, v10
	v_mul_lo_u32 v16, s2, v11
	s_delay_alu instid0(VALU_DEP_2) | instskip(SKIP_1) | instid1(VALU_DEP_2)
	v_mul_hi_u32 v17, s2, v10
	v_mul_lo_u32 v18, s5, v10
	v_add_nc_u32_e32 v16, v17, v16
	v_mul_lo_u32 v17, s2, v10
	s_delay_alu instid0(VALU_DEP_2) | instskip(NEXT) | instid1(VALU_DEP_2)
	v_add_nc_u32_e32 v16, v16, v18
	v_mul_hi_u32 v18, v10, v17
	s_delay_alu instid0(VALU_DEP_2)
	v_mul_lo_u32 v19, v10, v16
	v_mul_hi_u32 v20, v10, v16
	v_mul_hi_u32 v21, v11, v17
	v_mul_lo_u32 v17, v11, v17
	v_mul_hi_u32 v22, v11, v16
	v_mul_lo_u32 v16, v11, v16
	v_add_co_u32 v18, vcc_lo, v18, v19
	v_add_co_ci_u32_e32 v19, vcc_lo, 0, v20, vcc_lo
	s_delay_alu instid0(VALU_DEP_2) | instskip(NEXT) | instid1(VALU_DEP_2)
	v_add_co_u32 v17, vcc_lo, v18, v17
	v_add_co_ci_u32_e32 v17, vcc_lo, v19, v21, vcc_lo
	v_add_co_ci_u32_e32 v18, vcc_lo, 0, v22, vcc_lo
	v_ashrrev_i32_e32 v21, 31, v15
	s_delay_alu instid0(VALU_DEP_3) | instskip(NEXT) | instid1(VALU_DEP_3)
	v_add_co_u32 v16, vcc_lo, v17, v16
	v_add_co_ci_u32_e32 v17, vcc_lo, 0, v18, vcc_lo
	s_delay_alu instid0(VALU_DEP_2) | instskip(NEXT) | instid1(VALU_DEP_2)
	v_add_co_u32 v10, vcc_lo, v10, v16
	v_add_co_ci_u32_e32 v11, vcc_lo, v11, v17, vcc_lo
	s_delay_alu instid0(VALU_DEP_2) | instskip(SKIP_1) | instid1(VALU_DEP_3)
	v_mul_hi_u32 v16, s2, v10
	v_mul_lo_u32 v18, s5, v10
	v_mul_lo_u32 v17, s2, v11
	s_delay_alu instid0(VALU_DEP_1) | instskip(SKIP_1) | instid1(VALU_DEP_2)
	v_add_nc_u32_e32 v16, v16, v17
	v_mul_lo_u32 v17, s2, v10
	v_add_nc_u32_e32 v16, v16, v18
	s_delay_alu instid0(VALU_DEP_2) | instskip(NEXT) | instid1(VALU_DEP_2)
	v_mul_hi_u32 v18, v10, v17
	v_mul_lo_u32 v19, v10, v16
	v_mul_hi_u32 v20, v10, v16
	v_mul_hi_u32 v22, v11, v17
	v_mul_lo_u32 v17, v11, v17
	v_mul_hi_u32 v23, v11, v16
	v_mul_lo_u32 v16, v11, v16
	v_add_co_u32 v18, vcc_lo, v18, v19
	v_add_co_ci_u32_e32 v19, vcc_lo, 0, v20, vcc_lo
	s_delay_alu instid0(VALU_DEP_2) | instskip(NEXT) | instid1(VALU_DEP_2)
	v_add_co_u32 v17, vcc_lo, v18, v17
	v_add_co_ci_u32_e32 v17, vcc_lo, v19, v22, vcc_lo
	v_add_co_ci_u32_e32 v18, vcc_lo, 0, v23, vcc_lo
	v_add_co_u32 v19, vcc_lo, v14, v21
	v_add_co_ci_u32_e32 v20, vcc_lo, v15, v21, vcc_lo
	s_delay_alu instid0(VALU_DEP_4) | instskip(NEXT) | instid1(VALU_DEP_4)
	v_add_co_u32 v16, vcc_lo, v17, v16
	v_add_co_ci_u32_e32 v17, vcc_lo, 0, v18, vcc_lo
	s_delay_alu instid0(VALU_DEP_4) | instskip(NEXT) | instid1(VALU_DEP_3)
	v_xor_b32_e32 v22, v19, v21
	v_add_co_u32 v18, vcc_lo, v10, v16
	s_delay_alu instid0(VALU_DEP_3) | instskip(SKIP_1) | instid1(VALU_DEP_3)
	v_add_co_ci_u32_e32 v23, vcc_lo, v11, v17, vcc_lo
	v_xor_b32_e32 v20, v20, v21
	v_mul_hi_u32 v24, v22, v18
	s_delay_alu instid0(VALU_DEP_3) | instskip(NEXT) | instid1(VALU_DEP_3)
	v_mad_u64_u32 v[10:11], null, v22, v23, 0
	v_mad_u64_u32 v[16:17], null, v20, v18, 0
	;; [unrolled: 1-line block ×3, first 2 shown]
	s_delay_alu instid0(VALU_DEP_3) | instskip(NEXT) | instid1(VALU_DEP_4)
	v_add_co_u32 v10, vcc_lo, v24, v10
	v_add_co_ci_u32_e32 v11, vcc_lo, 0, v11, vcc_lo
	s_delay_alu instid0(VALU_DEP_2) | instskip(NEXT) | instid1(VALU_DEP_2)
	v_add_co_u32 v10, vcc_lo, v10, v16
	v_add_co_ci_u32_e32 v10, vcc_lo, v11, v17, vcc_lo
	v_add_co_ci_u32_e32 v11, vcc_lo, 0, v19, vcc_lo
	s_delay_alu instid0(VALU_DEP_2) | instskip(NEXT) | instid1(VALU_DEP_2)
	v_add_co_u32 v16, vcc_lo, v10, v18
	v_add_co_ci_u32_e32 v17, vcc_lo, 0, v11, vcc_lo
	s_delay_alu instid0(VALU_DEP_2) | instskip(SKIP_1) | instid1(VALU_DEP_3)
	v_mul_lo_u32 v18, s7, v16
	v_mad_u64_u32 v[10:11], null, s6, v16, 0
	v_mul_lo_u32 v19, s6, v17
	s_delay_alu instid0(VALU_DEP_2) | instskip(NEXT) | instid1(VALU_DEP_2)
	v_sub_co_u32 v10, vcc_lo, v22, v10
	v_add3_u32 v11, v11, v19, v18
	s_delay_alu instid0(VALU_DEP_1) | instskip(NEXT) | instid1(VALU_DEP_1)
	v_sub_nc_u32_e32 v18, v20, v11
	v_subrev_co_ci_u32_e64 v18, s2, s7, v18, vcc_lo
	v_add_co_u32 v19, s2, v16, 2
	s_delay_alu instid0(VALU_DEP_1) | instskip(SKIP_3) | instid1(VALU_DEP_3)
	v_add_co_ci_u32_e64 v22, s2, 0, v17, s2
	v_sub_co_u32 v23, s2, v10, s6
	v_sub_co_ci_u32_e32 v11, vcc_lo, v20, v11, vcc_lo
	v_subrev_co_ci_u32_e64 v18, s2, 0, v18, s2
	v_cmp_le_u32_e32 vcc_lo, s6, v23
	s_delay_alu instid0(VALU_DEP_3) | instskip(SKIP_1) | instid1(VALU_DEP_4)
	v_cmp_eq_u32_e64 s2, s7, v11
	v_cndmask_b32_e64 v20, 0, -1, vcc_lo
	v_cmp_le_u32_e32 vcc_lo, s7, v18
	v_cndmask_b32_e64 v23, 0, -1, vcc_lo
	v_cmp_le_u32_e32 vcc_lo, s6, v10
	;; [unrolled: 2-line block ×3, first 2 shown]
	v_cndmask_b32_e64 v24, 0, -1, vcc_lo
	v_cmp_eq_u32_e32 vcc_lo, s7, v18
	s_delay_alu instid0(VALU_DEP_2) | instskip(SKIP_3) | instid1(VALU_DEP_3)
	v_cndmask_b32_e64 v10, v24, v10, s2
	v_cndmask_b32_e32 v18, v23, v20, vcc_lo
	v_add_co_u32 v20, vcc_lo, v16, 1
	v_add_co_ci_u32_e32 v23, vcc_lo, 0, v17, vcc_lo
	v_cmp_ne_u32_e32 vcc_lo, 0, v18
	s_delay_alu instid0(VALU_DEP_2) | instskip(SKIP_2) | instid1(VALU_DEP_3)
	v_dual_cndmask_b32 v11, v23, v22 :: v_dual_cndmask_b32 v18, v20, v19
	v_cmp_ne_u32_e32 vcc_lo, 0, v10
	v_xor_b32_e32 v19, s4, v21
	v_dual_cndmask_b32 v10, v17, v11 :: v_dual_cndmask_b32 v11, v16, v18
	s_delay_alu instid0(VALU_DEP_1) | instskip(NEXT) | instid1(VALU_DEP_2)
	v_xor_b32_e32 v16, v10, v19
	v_xor_b32_e32 v11, v11, v19
	s_delay_alu instid0(VALU_DEP_1) | instskip(NEXT) | instid1(VALU_DEP_3)
	v_sub_co_u32 v10, vcc_lo, v11, v19
	v_sub_co_ci_u32_e32 v11, vcc_lo, v16, v19, vcc_lo
.LBB6_23:
	s_and_not1_saveexec_b32 s2, s3
	s_cbranch_execz .LBB6_25
; %bb.24:
	v_cvt_f32_u32_e32 v10, s40
	s_sub_i32 s3, 0, s40
	s_delay_alu instid0(VALU_DEP_1) | instskip(SKIP_2) | instid1(VALU_DEP_1)
	v_rcp_iflag_f32_e32 v10, v10
	s_waitcnt_depctr 0xfff
	v_mul_f32_e32 v10, 0x4f7ffffe, v10
	v_cvt_u32_f32_e32 v10, v10
	s_delay_alu instid0(VALU_DEP_1) | instskip(NEXT) | instid1(VALU_DEP_1)
	v_mul_lo_u32 v11, s3, v10
	v_mul_hi_u32 v11, v10, v11
	s_delay_alu instid0(VALU_DEP_1) | instskip(NEXT) | instid1(VALU_DEP_1)
	v_add_nc_u32_e32 v10, v10, v11
	v_mul_hi_u32 v10, v14, v10
	s_delay_alu instid0(VALU_DEP_1) | instskip(SKIP_1) | instid1(VALU_DEP_2)
	v_mul_lo_u32 v11, v10, s40
	v_add_nc_u32_e32 v16, 1, v10
	v_sub_nc_u32_e32 v11, v14, v11
	s_delay_alu instid0(VALU_DEP_1) | instskip(SKIP_1) | instid1(VALU_DEP_2)
	v_subrev_nc_u32_e32 v17, s40, v11
	v_cmp_le_u32_e32 vcc_lo, s40, v11
	v_dual_cndmask_b32 v11, v11, v17 :: v_dual_cndmask_b32 v10, v10, v16
	s_delay_alu instid0(VALU_DEP_1) | instskip(NEXT) | instid1(VALU_DEP_2)
	v_cmp_le_u32_e32 vcc_lo, s40, v11
	v_dual_mov_b32 v11, 0 :: v_dual_add_nc_u32 v16, 1, v10
	s_delay_alu instid0(VALU_DEP_1)
	v_cndmask_b32_e32 v10, v10, v16, vcc_lo
.LBB6_25:
	s_or_b32 exec_lo, exec_lo, s2
	v_mul_lo_u32 v18, v3, s22
	v_mul_lo_u32 v19, v2, s23
	v_mad_u64_u32 v[16:17], null, v2, s22, 0
	v_mul_lo_u32 v5, v5, s36
	v_mad_u64_u32 v[48:49], null, v4, s36, 0
	v_mul_lo_u32 v53, v2, s31
	v_mul_lo_u32 v54, v3, s30
	v_mul_lo_u32 v55, v0, s39
	v_add3_u32 v17, v17, v19, v18
	v_sub_co_u32 v50, vcc_lo, v12, v16
	v_mul_lo_u32 v56, v1, s38
	s_load_b64 s[2:3], s[0:1], 0x80
	s_delay_alu instid0(VALU_DEP_3) | instskip(NEXT) | instid1(VALU_DEP_3)
	v_sub_co_ci_u32_e32 v16, vcc_lo, v13, v17, vcc_lo
	v_mad_u64_u32 v[12:13], null, v50, s28, s[16:17]
	v_mul_lo_u32 v51, v50, s29
	s_delay_alu instid0(VALU_DEP_3) | instskip(SKIP_2) | instid1(VALU_DEP_2)
	v_mul_lo_u32 v52, v16, s28
	v_mul_lo_u32 v16, v4, s37
	s_mov_b32 s1, 0xbd800000
	v_add3_u32 v13, v52, v13, v51
	s_delay_alu instid0(VALU_DEP_2) | instskip(NEXT) | instid1(VALU_DEP_2)
	v_add3_u32 v49, v49, v16, v5
	v_mad_u64_u32 v[3:4], null, v2, s30, v[12:13]
	s_waitcnt lgkmcnt(0)
	v_mul_lo_u32 v9, v9, s2
	s_delay_alu instid0(VALU_DEP_2) | instskip(NEXT) | instid1(VALU_DEP_3)
	v_add3_u32 v4, v54, v4, v53
	v_add_co_u32 v12, vcc_lo, v3, v48
	s_delay_alu instid0(VALU_DEP_2) | instskip(NEXT) | instid1(VALU_DEP_1)
	v_add_co_ci_u32_e32 v13, vcc_lo, v4, v49, vcc_lo
	v_mad_u64_u32 v[3:4], null, v0, s38, v[12:13]
	v_mad_u64_u32 v[12:13], null, v10, s40, 0
	s_delay_alu instid0(VALU_DEP_2)
	v_add3_u32 v4, v56, v4, v55
	s_clause 0x7
	global_load_b128 v[16:19], v[3:4], off
	global_load_b128 v[20:23], v[3:4], off offset:16
	global_load_b128 v[24:27], v[3:4], off offset:32
	;; [unrolled: 1-line block ×7, first 2 shown]
	v_sub_co_u32 v12, s0, v14, v12
	s_waitcnt vmcnt(7)
	v_cmp_lg_f32_e32 vcc_lo, 0, v16
	v_cndmask_b32_e64 v5, 0, |v16|, vcc_lo
	v_cndmask_b32_e32 v1, 0, v16, vcc_lo
	s_delay_alu instid0(VALU_DEP_2) | instskip(NEXT) | instid1(VALU_DEP_1)
	v_cmp_lt_f32_e64 vcc_lo, v5, |v17|
	v_cndmask_b32_e64 v5, v5, |v17|, vcc_lo
	s_delay_alu instid0(VALU_DEP_3) | instskip(SKIP_1) | instid1(VALU_DEP_3)
	v_cndmask_b32_e32 v1, v1, v17, vcc_lo
	v_mad_u64_u32 v[16:17], null, v6, s50, 0
	v_cmp_lt_f32_e64 vcc_lo, v5, |v18|
	s_delay_alu instid0(VALU_DEP_1) | instskip(NEXT) | instid1(VALU_DEP_4)
	v_cndmask_b32_e64 v5, v5, |v18|, vcc_lo
	v_cndmask_b32_e32 v1, v1, v18, vcc_lo
	v_mul_lo_u32 v18, v11, s40
	s_delay_alu instid0(VALU_DEP_3) | instskip(NEXT) | instid1(VALU_DEP_1)
	v_cmp_lt_f32_e64 vcc_lo, v5, |v19|
	v_cndmask_b32_e64 v5, v5, |v19|, vcc_lo
	s_delay_alu instid0(VALU_DEP_4) | instskip(SKIP_2) | instid1(VALU_DEP_3)
	v_cndmask_b32_e32 v1, v1, v19, vcc_lo
	v_mul_lo_u32 v19, v10, s41
	s_waitcnt vmcnt(6)
	v_cmp_lt_f32_e64 vcc_lo, v5, |v20|
	s_delay_alu instid0(VALU_DEP_1) | instskip(SKIP_2) | instid1(VALU_DEP_3)
	v_cndmask_b32_e64 v5, v5, |v20|, vcc_lo
	v_cndmask_b32_e32 v1, v1, v20, vcc_lo
	v_mul_lo_u32 v20, v7, s50
	v_cmp_lt_f32_e64 vcc_lo, v5, |v21|
	s_delay_alu instid0(VALU_DEP_1) | instskip(NEXT) | instid1(VALU_DEP_4)
	v_cndmask_b32_e64 v5, v5, |v21|, vcc_lo
	v_cndmask_b32_e32 v1, v1, v21, vcc_lo
	v_mul_lo_u32 v21, v6, s51
	v_add3_u32 v6, v13, v19, v18
	s_delay_alu instid0(VALU_DEP_4) | instskip(NEXT) | instid1(VALU_DEP_2)
	v_cmp_lt_f32_e64 vcc_lo, v5, |v22|
	v_sub_co_ci_u32_e64 v13, s0, v15, v6, s0
	s_delay_alu instid0(VALU_DEP_2)
	v_cndmask_b32_e64 v5, v5, |v22|, vcc_lo
	v_cndmask_b32_e32 v1, v1, v22, vcc_lo
	v_add3_u32 v17, v17, v21, v20
	v_mul_lo_u32 v15, v8, s3
	v_mul_lo_u32 v22, v10, s49
	v_cmp_lt_f32_e64 vcc_lo, v5, |v23|
	s_delay_alu instid0(VALU_DEP_1) | instskip(SKIP_2) | instid1(VALU_DEP_2)
	v_cndmask_b32_e64 v5, v5, |v23|, vcc_lo
	v_cndmask_b32_e32 v1, v1, v23, vcc_lo
	s_waitcnt vmcnt(5)
	v_cmp_lt_f32_e64 vcc_lo, v5, |v24|
	s_delay_alu instid0(VALU_DEP_1) | instskip(NEXT) | instid1(VALU_DEP_3)
	v_cndmask_b32_e64 v5, v5, |v24|, vcc_lo
	v_cndmask_b32_e32 v1, v1, v24, vcc_lo
	s_delay_alu instid0(VALU_DEP_2) | instskip(NEXT) | instid1(VALU_DEP_1)
	v_cmp_lt_f32_e64 vcc_lo, v5, |v25|
	v_cndmask_b32_e64 v5, v5, |v25|, vcc_lo
	s_delay_alu instid0(VALU_DEP_3) | instskip(NEXT) | instid1(VALU_DEP_2)
	v_cndmask_b32_e32 v1, v1, v25, vcc_lo
	v_cmp_lt_f32_e64 vcc_lo, v5, |v26|
	s_delay_alu instid0(VALU_DEP_1) | instskip(NEXT) | instid1(VALU_DEP_3)
	v_cndmask_b32_e64 v5, v5, |v26|, vcc_lo
	v_cndmask_b32_e32 v1, v1, v26, vcc_lo
	v_mul_lo_u32 v26, v11, s48
	s_delay_alu instid0(VALU_DEP_3) | instskip(NEXT) | instid1(VALU_DEP_1)
	v_cmp_lt_f32_e64 vcc_lo, v5, |v27|
	v_cndmask_b32_e64 v5, v5, |v27|, vcc_lo
	s_delay_alu instid0(VALU_DEP_4) | instskip(SKIP_1) | instid1(VALU_DEP_2)
	v_cndmask_b32_e32 v1, v1, v27, vcc_lo
	s_waitcnt vmcnt(4)
	v_cmp_lt_f32_e64 vcc_lo, v5, |v28|
	s_delay_alu instid0(VALU_DEP_1) | instskip(NEXT) | instid1(VALU_DEP_3)
	v_cndmask_b32_e64 v5, v5, |v28|, vcc_lo
	v_cndmask_b32_e32 v1, v1, v28, vcc_lo
	s_delay_alu instid0(VALU_DEP_2) | instskip(NEXT) | instid1(VALU_DEP_1)
	v_cmp_lt_f32_e64 vcc_lo, v5, |v29|
	v_cndmask_b32_e64 v5, v5, |v29|, vcc_lo
	s_delay_alu instid0(VALU_DEP_3) | instskip(NEXT) | instid1(VALU_DEP_2)
	v_cndmask_b32_e32 v1, v1, v29, vcc_lo
	v_cmp_lt_f32_e64 vcc_lo, v5, |v30|
	s_delay_alu instid0(VALU_DEP_1) | instskip(NEXT) | instid1(VALU_DEP_3)
	v_cndmask_b32_e64 v5, v5, |v30|, vcc_lo
	v_cndmask_b32_e32 v1, v1, v30, vcc_lo
	s_delay_alu instid0(VALU_DEP_2) | instskip(NEXT) | instid1(VALU_DEP_1)
	v_cmp_lt_f32_e64 vcc_lo, v5, |v31|
	v_cndmask_b32_e64 v5, v5, |v31|, vcc_lo
	s_delay_alu instid0(VALU_DEP_3) | instskip(SKIP_1) | instid1(VALU_DEP_2)
	v_cndmask_b32_e32 v1, v1, v31, vcc_lo
	s_waitcnt vmcnt(3)
	v_cmp_lt_f32_e64 vcc_lo, v5, |v32|
	s_delay_alu instid0(VALU_DEP_1) | instskip(NEXT) | instid1(VALU_DEP_3)
	v_cndmask_b32_e64 v5, v5, |v32|, vcc_lo
	v_cndmask_b32_e32 v1, v1, v32, vcc_lo
	s_delay_alu instid0(VALU_DEP_2) | instskip(NEXT) | instid1(VALU_DEP_1)
	v_cmp_lt_f32_e64 vcc_lo, v5, |v33|
	v_cndmask_b32_e64 v5, v5, |v33|, vcc_lo
	s_delay_alu instid0(VALU_DEP_3) | instskip(NEXT) | instid1(VALU_DEP_2)
	v_cndmask_b32_e32 v1, v1, v33, vcc_lo
	v_cmp_lt_f32_e64 vcc_lo, v5, |v34|
	s_delay_alu instid0(VALU_DEP_1) | instskip(NEXT) | instid1(VALU_DEP_3)
	v_cndmask_b32_e64 v5, v5, |v34|, vcc_lo
	v_cndmask_b32_e32 v1, v1, v34, vcc_lo
	s_delay_alu instid0(VALU_DEP_2) | instskip(NEXT) | instid1(VALU_DEP_1)
	v_cmp_lt_f32_e64 vcc_lo, v5, |v35|
	v_cndmask_b32_e64 v5, v5, |v35|, vcc_lo
	s_delay_alu instid0(VALU_DEP_3) | instskip(SKIP_1) | instid1(VALU_DEP_2)
	;; [unrolled: 19-line block ×4, first 2 shown]
	v_cndmask_b32_e32 v1, v1, v43, vcc_lo
	s_waitcnt vmcnt(0)
	v_cmp_lt_f32_e64 vcc_lo, v5, |v44|
	s_delay_alu instid0(VALU_DEP_1) | instskip(NEXT) | instid1(VALU_DEP_3)
	v_cndmask_b32_e64 v5, v5, |v44|, vcc_lo
	v_cndmask_b32_e32 v1, v1, v44, vcc_lo
	s_delay_alu instid0(VALU_DEP_2) | instskip(NEXT) | instid1(VALU_DEP_1)
	v_cmp_lt_f32_e64 vcc_lo, v5, |v45|
	v_cndmask_b32_e64 v5, v5, |v45|, vcc_lo
	s_delay_alu instid0(VALU_DEP_3) | instskip(NEXT) | instid1(VALU_DEP_2)
	v_cndmask_b32_e32 v1, v1, v45, vcc_lo
	v_cmp_lt_f32_e64 vcc_lo, v5, |v46|
	s_delay_alu instid0(VALU_DEP_1) | instskip(NEXT) | instid1(VALU_DEP_3)
	v_cndmask_b32_e64 v14, v5, |v46|, vcc_lo
	v_cndmask_b32_e32 v1, v1, v46, vcc_lo
	v_mad_u64_u32 v[5:6], null, v0, s38, v[48:49]
	v_ashrrev_i32_e32 v0, 31, v13
	s_delay_alu instid0(VALU_DEP_4) | instskip(NEXT) | instid1(VALU_DEP_2)
	v_cmp_lt_f32_e64 vcc_lo, v14, |v47|
	v_lshrrev_b32_e32 v14, 27, v0
	v_cndmask_b32_e32 v23, v1, v47, vcc_lo
	v_add3_u32 v6, v56, v6, v55
	v_mad_u64_u32 v[0:1], null, v8, s2, v[16:17]
	s_delay_alu instid0(VALU_DEP_4) | instskip(NEXT) | instid1(VALU_DEP_4)
	v_add_co_u32 v12, vcc_lo, v12, v14
	v_mul_f32_e32 v24, 0xbd800000, v23
	v_add_co_ci_u32_e32 v13, vcc_lo, 0, v13, vcc_lo
	s_delay_alu instid0(VALU_DEP_4) | instskip(NEXT) | instid1(VALU_DEP_3)
	v_add3_u32 v1, v9, v1, v15
	v_div_scale_f32 v25, null, v24, v24, 1.0
	s_delay_alu instid0(VALU_DEP_3) | instskip(SKIP_1) | instid1(VALU_DEP_3)
	v_ashrrev_i64 v[11:12], 5, v[12:13]
	v_mad_u64_u32 v[13:14], null, v2, s30, v[5:6]
	v_rcp_f32_e32 v2, v25
	v_mad_u64_u32 v[18:19], null, v10, s48, v[0:1]
	s_delay_alu instid0(VALU_DEP_3) | instskip(SKIP_4) | instid1(TRANS32_DEP_1)
	v_mad_u64_u32 v[5:6], null, v11, s46, s[18:19]
	v_mul_lo_u32 v27, v11, s47
	v_mul_lo_u32 v28, v12, s46
	v_div_scale_f32 v29, vcc_lo, 1.0, v24, 1.0
	v_add3_u32 v14, v54, v14, v53
	v_fma_f32 v12, -v25, v2, 1.0
	v_add3_u32 v19, v26, v19, v22
	v_add3_u32 v6, v28, v6, v27
	s_delay_alu instid0(VALU_DEP_3) | instskip(SKIP_1) | instid1(VALU_DEP_3)
	v_dual_fmac_f32 v2, v12, v2 :: v_dual_mov_b32 v7, 0
	v_mad_u64_u32 v[0:1], null, v50, s28, v[13:14]
	v_mad_u64_u32 v[13:14], null, v10, s48, v[5:6]
	s_delay_alu instid0(VALU_DEP_3) | instskip(SKIP_3) | instid1(VALU_DEP_4)
	v_mul_f32_e32 v30, v29, v2
	v_mad_u64_u32 v[20:21], null, v11, s46, v[18:19]
	v_mov_b32_e32 v12, 0
	v_add3_u32 v1, v52, v1, v51
	v_fma_f32 v11, -v25, v30, v29
	v_add3_u32 v6, v26, v14, v22
	v_add_co_u32 v5, s0, v13, v16
	v_add3_u32 v14, v28, v21, v27
	s_delay_alu instid0(VALU_DEP_4) | instskip(NEXT) | instid1(VALU_DEP_4)
	v_fmac_f32_e32 v30, v11, v2
	v_add_co_ci_u32_e64 v6, s0, v6, v17, s0
	v_add_co_u32 v11, s0, v0, s16
	s_delay_alu instid0(VALU_DEP_3) | instskip(SKIP_1) | instid1(VALU_DEP_4)
	v_fma_f32 v16, -v25, v30, v29
	v_add_co_ci_u32_e64 v13, s0, s17, v1, s0
	v_mad_u64_u32 v[0:1], null, v8, s2, v[5:6]
	s_delay_alu instid0(VALU_DEP_3) | instskip(SKIP_1) | instid1(VALU_DEP_4)
	v_div_fmas_f32 v2, v16, v2, v30
	v_add_co_u32 v5, vcc_lo, v11, 64
	v_add_co_ci_u32_e32 v6, vcc_lo, 0, v13, vcc_lo
	s_delay_alu instid0(VALU_DEP_3)
	v_div_fixup_f32 v11, v2, v24, 1.0
	v_add_co_u32 v2, vcc_lo, s18, v20
	v_add_co_ci_u32_e32 v8, vcc_lo, s19, v14, vcc_lo
	v_cmp_neq_f32_e32 vcc_lo, 0, v24
	v_mov_b32_e32 v10, 0
	v_add3_u32 v1, v9, v1, v15
	v_fma_mixlo_f16 v13, v23, s1, 0
	s_mov_b32 s1, 0
	v_cndmask_b32_e32 v9, 0, v11, vcc_lo
	v_mov_b32_e32 v11, 0
	s_mov_b64 s[2:3], 0
	global_store_b16 v[0:1], v13, off
.LBB6_26:                               ; =>This Inner Loop Header: Depth=1
	s_clause 0x1
	global_load_b64 v[13:14], v[5:6], off offset:-64
	global_load_b32 v17, v[5:6], off
	s_or_b32 s0, s2, 17
	v_and_b32_e32 v7, 0xff, v7
	s_lshl_b64 s[4:5], s[0:1], 2
	v_lshlrev_b32_e32 v10, 16, v10
	v_add_co_u32 v15, vcc_lo, v3, s4
	v_add_co_ci_u32_e32 v16, vcc_lo, s5, v4, vcc_lo
	s_add_i32 s4, s2, 16
	s_add_i32 s5, s2, 1
	v_lshlrev_b32_e32 v12, 8, v12
	global_load_b32 v18, v[15:16], off
	v_perm_b32 v10, v11, v10, 0x4020c0c
	v_and_b32_e32 v11, 0xff00, v12
	s_delay_alu instid0(VALU_DEP_1)
	v_or3_b32 v7, v10, v11, v7
	s_waitcnt vmcnt(2)
	v_fmaak_f32 v13, v9, v13, 0x41840000
	s_waitcnt vmcnt(1)
	v_fmaak_f32 v15, v9, v17, 0x41840000
	v_fmaak_f32 v17, v9, v14, 0x41840000
	s_delay_alu instid0(VALU_DEP_3) | instskip(NEXT) | instid1(VALU_DEP_3)
	v_cvt_i32_f32_e32 v13, v13
	v_cvt_i32_f32_e32 v15, v15
	s_delay_alu instid0(VALU_DEP_2) | instskip(NEXT) | instid1(VALU_DEP_2)
	v_cvt_f64_i32_e32 v[13:14], v13
	v_cvt_f64_i32_e32 v[15:16], v15
	s_waitcnt vmcnt(0)
	v_fmaak_f32 v19, v9, v18, 0x41840000
	s_delay_alu instid0(VALU_DEP_3) | instskip(NEXT) | instid1(VALU_DEP_3)
	v_min_f64 v[13:14], 0x403f0000, v[13:14]
	v_min_f64 v[15:16], 0x403f0000, v[15:16]
	s_delay_alu instid0(VALU_DEP_2) | instskip(NEXT) | instid1(VALU_DEP_2)
	v_cvt_i32_f64_e32 v21, v[13:14]
	v_cvt_i32_f64_e32 v15, v[15:16]
	v_add_co_u32 v13, vcc_lo, v2, s2
	v_add_co_ci_u32_e32 v14, vcc_lo, s3, v8, vcc_lo
	v_add_co_u32 v5, vcc_lo, v5, 8
	v_add_co_ci_u32_e32 v6, vcc_lo, 0, v6, vcc_lo
	v_and_b32_e32 v12, 15, v21
	v_cvt_i32_f32_e32 v17, v17
	v_lshrrev_b16 v10, 4, v21
	v_lshrrev_b16 v11, 4, v15
	v_lshlrev_b16 v15, 4, v15
	s_delay_alu instid0(VALU_DEP_4) | instskip(NEXT) | instid1(VALU_DEP_4)
	v_cvt_f64_i32_e32 v[17:18], v17
	v_and_b32_e32 v10, 1, v10
	s_delay_alu instid0(VALU_DEP_4) | instskip(NEXT) | instid1(VALU_DEP_4)
	v_and_b32_e32 v11, 1, v11
	v_or_b32_e32 v12, v15, v12
	s_delay_alu instid0(VALU_DEP_3) | instskip(NEXT) | instid1(VALU_DEP_3)
	v_and_b32_e32 v10, 0xffff, v10
	v_and_b32_e32 v11, 0xffff, v11
	s_delay_alu instid0(VALU_DEP_3) | instskip(NEXT) | instid1(VALU_DEP_3)
	v_and_b32_e32 v12, 0xff, v12
	v_lshlrev_b32_e32 v10, s2, v10
	s_delay_alu instid0(VALU_DEP_3) | instskip(SKIP_3) | instid1(VALU_DEP_1)
	v_lshlrev_b32_e32 v11, s4, v11
	s_add_u32 s2, s2, 2
	s_addc_u32 s3, s3, 0
	s_cmp_lg_u32 s2, 16
	v_or3_b32 v7, v10, v7, v11
	v_min_f64 v[17:18], 0x403f0000, v[17:18]
	s_delay_alu instid0(VALU_DEP_1) | instskip(NEXT) | instid1(VALU_DEP_1)
	v_cvt_i32_f64_e32 v16, v[17:18]
	v_lshrrev_b16 v18, 4, v16
	v_and_b32_e32 v16, 15, v16
	v_cvt_i32_f32_e32 v19, v19
	s_delay_alu instid0(VALU_DEP_3) | instskip(NEXT) | instid1(VALU_DEP_3)
	v_and_b32_e32 v18, 1, v18
	v_lshlrev_b16 v10, 8, v16
	s_delay_alu instid0(VALU_DEP_3) | instskip(NEXT) | instid1(VALU_DEP_3)
	v_cvt_f64_i32_e32 v[19:20], v19
	v_and_b32_e32 v15, 0xffff, v18
	s_delay_alu instid0(VALU_DEP_1) | instskip(NEXT) | instid1(VALU_DEP_3)
	v_lshl_or_b32 v7, v15, s5, v7
	v_min_f64 v[19:20], 0x403f0000, v[19:20]
	s_delay_alu instid0(VALU_DEP_1) | instskip(NEXT) | instid1(VALU_DEP_1)
	v_cvt_i32_f64_e32 v17, v[19:20]
	v_lshrrev_b16 v19, 4, v17
	v_lshlrev_b16 v11, 12, v17
	s_delay_alu instid0(VALU_DEP_2) | instskip(NEXT) | instid1(VALU_DEP_2)
	v_and_b32_e32 v18, 1, v19
	v_or_b32_e32 v10, v11, v10
	s_delay_alu instid0(VALU_DEP_2) | instskip(NEXT) | instid1(VALU_DEP_2)
	v_and_b32_e32 v16, 0xffff, v18
	v_or_b32_e32 v15, v12, v10
	v_lshrrev_b32_e32 v12, 8, v7
	s_delay_alu instid0(VALU_DEP_3)
	v_lshl_or_b32 v11, v16, s0, v7
	global_store_b16 v[13:14], v15, off offset:6
	v_lshrrev_b32_e32 v10, 16, v11
	v_lshrrev_b32_e32 v11, 24, v11
	s_cbranch_scc1 .LBB6_26
; %bb.27:
	v_lshlrev_b16 v2, 8, v12
	v_and_b32_e32 v3, 0xff, v7
	s_delay_alu instid0(VALU_DEP_3) | instskip(SKIP_1) | instid1(VALU_DEP_3)
	v_lshlrev_b16 v4, 8, v11
	v_and_b32_e32 v5, 0xff, v10
	v_or_b32_e32 v2, v3, v2
	s_delay_alu instid0(VALU_DEP_2) | instskip(NEXT) | instid1(VALU_DEP_2)
	v_or_b32_e32 v3, v5, v4
	v_and_b32_e32 v2, 0xffff, v2
	s_delay_alu instid0(VALU_DEP_2) | instskip(NEXT) | instid1(VALU_DEP_1)
	v_lshlrev_b32_e32 v3, 16, v3
	v_or_b32_e32 v2, v2, v3
	global_store_b32 v[0:1], v2, off offset:2
.LBB6_28:
	s_nop 0
	s_sendmsg sendmsg(MSG_DEALLOC_VGPRS)
	s_endpgm
	.section	.rodata,"a",@progbits
	.p2align	6, 0x0
	.amdhsa_kernel _ZL9cpy_f32_qIXadL_ZL17cpy_blck_f32_q5_0PKcPcEELi32EEvS1_S2_lllllllllllllll
		.amdhsa_group_segment_fixed_size 0
		.amdhsa_private_segment_fixed_size 0
		.amdhsa_kernarg_size 392
		.amdhsa_user_sgpr_count 15
		.amdhsa_user_sgpr_dispatch_ptr 0
		.amdhsa_user_sgpr_queue_ptr 0
		.amdhsa_user_sgpr_kernarg_segment_ptr 1
		.amdhsa_user_sgpr_dispatch_id 0
		.amdhsa_user_sgpr_private_segment_size 0
		.amdhsa_wavefront_size32 1
		.amdhsa_uses_dynamic_stack 0
		.amdhsa_enable_private_segment 0
		.amdhsa_system_sgpr_workgroup_id_x 1
		.amdhsa_system_sgpr_workgroup_id_y 0
		.amdhsa_system_sgpr_workgroup_id_z 0
		.amdhsa_system_sgpr_workgroup_info 0
		.amdhsa_system_vgpr_workitem_id 0
		.amdhsa_next_free_vgpr 57
		.amdhsa_next_free_sgpr 52
		.amdhsa_reserve_vcc 1
		.amdhsa_float_round_mode_32 0
		.amdhsa_float_round_mode_16_64 0
		.amdhsa_float_denorm_mode_32 3
		.amdhsa_float_denorm_mode_16_64 3
		.amdhsa_dx10_clamp 1
		.amdhsa_ieee_mode 1
		.amdhsa_fp16_overflow 0
		.amdhsa_workgroup_processor_mode 1
		.amdhsa_memory_ordered 1
		.amdhsa_forward_progress 0
		.amdhsa_shared_vgpr_count 0
		.amdhsa_exception_fp_ieee_invalid_op 0
		.amdhsa_exception_fp_denorm_src 0
		.amdhsa_exception_fp_ieee_div_zero 0
		.amdhsa_exception_fp_ieee_overflow 0
		.amdhsa_exception_fp_ieee_underflow 0
		.amdhsa_exception_fp_ieee_inexact 0
		.amdhsa_exception_int_div_zero 0
	.end_amdhsa_kernel
	.section	.text._ZL9cpy_f32_qIXadL_ZL17cpy_blck_f32_q5_0PKcPcEELi32EEvS1_S2_lllllllllllllll,"axG",@progbits,_ZL9cpy_f32_qIXadL_ZL17cpy_blck_f32_q5_0PKcPcEELi32EEvS1_S2_lllllllllllllll,comdat
.Lfunc_end6:
	.size	_ZL9cpy_f32_qIXadL_ZL17cpy_blck_f32_q5_0PKcPcEELi32EEvS1_S2_lllllllllllllll, .Lfunc_end6-_ZL9cpy_f32_qIXadL_ZL17cpy_blck_f32_q5_0PKcPcEELi32EEvS1_S2_lllllllllllllll
                                        ; -- End function
	.section	.AMDGPU.csdata,"",@progbits
; Kernel info:
; codeLenInByte = 8612
; NumSgprs: 54
; NumVgprs: 57
; ScratchSize: 0
; MemoryBound: 0
; FloatMode: 240
; IeeeMode: 1
; LDSByteSize: 0 bytes/workgroup (compile time only)
; SGPRBlocks: 6
; VGPRBlocks: 7
; NumSGPRsForWavesPerEU: 54
; NumVGPRsForWavesPerEU: 57
; Occupancy: 16
; WaveLimiterHint : 0
; COMPUTE_PGM_RSRC2:SCRATCH_EN: 0
; COMPUTE_PGM_RSRC2:USER_SGPR: 15
; COMPUTE_PGM_RSRC2:TRAP_HANDLER: 0
; COMPUTE_PGM_RSRC2:TGID_X_EN: 1
; COMPUTE_PGM_RSRC2:TGID_Y_EN: 0
; COMPUTE_PGM_RSRC2:TGID_Z_EN: 0
; COMPUTE_PGM_RSRC2:TIDIG_COMP_CNT: 0
	.section	.text._ZL9cpy_q_f32IXadL_ZL14cpy_blck_q_f32IXadL_ZL15dequantize_q5_0PKvliR15HIP_vector_typeIfLj2EEEELi32EEvPKcPcEELi32EEvS7_S8_lllllllllllllll,"axG",@progbits,_ZL9cpy_q_f32IXadL_ZL14cpy_blck_q_f32IXadL_ZL15dequantize_q5_0PKvliR15HIP_vector_typeIfLj2EEEELi32EEvPKcPcEELi32EEvS7_S8_lllllllllllllll,comdat
	.globl	_ZL9cpy_q_f32IXadL_ZL14cpy_blck_q_f32IXadL_ZL15dequantize_q5_0PKvliR15HIP_vector_typeIfLj2EEEELi32EEvPKcPcEELi32EEvS7_S8_lllllllllllllll ; -- Begin function _ZL9cpy_q_f32IXadL_ZL14cpy_blck_q_f32IXadL_ZL15dequantize_q5_0PKvliR15HIP_vector_typeIfLj2EEEELi32EEvPKcPcEELi32EEvS7_S8_lllllllllllllll
	.p2align	8
	.type	_ZL9cpy_q_f32IXadL_ZL14cpy_blck_q_f32IXadL_ZL15dequantize_q5_0PKvliR15HIP_vector_typeIfLj2EEEELi32EEvPKcPcEELi32EEvS7_S8_lllllllllllllll,@function
_ZL9cpy_q_f32IXadL_ZL14cpy_blck_q_f32IXadL_ZL15dequantize_q5_0PKvliR15HIP_vector_typeIfLj2EEEELi32EEvPKcPcEELi32EEvS7_S8_lllllllllllllll: ; @_ZL9cpy_q_f32IXadL_ZL14cpy_blck_q_f32IXadL_ZL15dequantize_q5_0PKvliR15HIP_vector_typeIfLj2EEEELi32EEvPKcPcEELi32EEvS7_S8_lllllllllllllll
; %bb.0:
	s_load_b32 s2, s[0:1], 0x94
	v_mov_b32_e32 v2, 0
	s_load_b512 s[16:31], s[0:1], 0x0
	s_delay_alu instid0(VALU_DEP_1)
	v_mov_b32_e32 v1, v2
	s_waitcnt lgkmcnt(0)
	s_and_b32 s2, s2, 0xffff
	s_delay_alu instid0(VALU_DEP_1) | instid1(SALU_CYCLE_1)
	v_mad_u64_u32 v[3:4], null, s2, s15, v[0:1]
	s_mov_b32 s2, exec_lo
	s_delay_alu instid0(VALU_DEP_1) | instskip(NEXT) | instid1(VALU_DEP_1)
	v_lshlrev_b64 v[4:5], 5, v[3:4]
	v_cmpx_gt_i64_e64 s[20:21], v[4:5]
	s_cbranch_execz .LBB7_26
; %bb.1:
	s_mul_i32 s2, s24, s23
	s_mul_hi_u32 s3, s24, s22
                                        ; implicit-def: $vgpr0_vgpr1
	s_delay_alu instid0(SALU_CYCLE_1)
	s_add_i32 s8, s3, s2
	s_mul_i32 s3, s24, s22
	s_mul_i32 s2, s25, s22
	;; [unrolled: 1-line block ×3, first 2 shown]
	s_mul_hi_u32 s5, s3, s26
	s_add_i32 s8, s8, s2
	s_add_i32 s2, s5, s4
	s_mul_i32 s4, s8, s26
	s_mul_i32 s10, s3, s26
	s_add_i32 s9, s2, s4
	s_mov_b32 s2, exec_lo
	v_or_b32_e32 v3, s9, v5
	s_delay_alu instid0(VALU_DEP_1)
	v_cmpx_ne_u64_e32 0, v[2:3]
	s_xor_b32 s11, exec_lo, s2
	s_cbranch_execz .LBB7_3
; %bb.2:
	s_ashr_i32 s4, s9, 31
	s_delay_alu instid0(SALU_CYCLE_1) | instskip(SKIP_2) | instid1(SALU_CYCLE_1)
	s_add_u32 s6, s10, s4
	s_mov_b32 s5, s4
	s_addc_u32 s7, s9, s4
	s_xor_b64 s[6:7], s[6:7], s[4:5]
	s_delay_alu instid0(SALU_CYCLE_1) | instskip(SKIP_3) | instid1(VALU_DEP_1)
	v_cvt_f32_u32_e32 v0, s6
	v_cvt_f32_u32_e32 v1, s7
	s_sub_u32 s2, 0, s6
	s_subb_u32 s5, 0, s7
	v_fmamk_f32 v0, v1, 0x4f800000, v0
	s_delay_alu instid0(VALU_DEP_1) | instskip(SKIP_2) | instid1(VALU_DEP_1)
	v_rcp_f32_e32 v0, v0
	s_waitcnt_depctr 0xfff
	v_mul_f32_e32 v0, 0x5f7ffffc, v0
	v_mul_f32_e32 v1, 0x2f800000, v0
	s_delay_alu instid0(VALU_DEP_1) | instskip(NEXT) | instid1(VALU_DEP_1)
	v_trunc_f32_e32 v1, v1
	v_fmamk_f32 v0, v1, 0xcf800000, v0
	v_cvt_u32_f32_e32 v1, v1
	s_delay_alu instid0(VALU_DEP_2) | instskip(NEXT) | instid1(VALU_DEP_2)
	v_cvt_u32_f32_e32 v0, v0
	v_mul_lo_u32 v2, s2, v1
	s_delay_alu instid0(VALU_DEP_2) | instskip(SKIP_1) | instid1(VALU_DEP_2)
	v_mul_hi_u32 v3, s2, v0
	v_mul_lo_u32 v6, s5, v0
	v_add_nc_u32_e32 v2, v3, v2
	v_mul_lo_u32 v3, s2, v0
	s_delay_alu instid0(VALU_DEP_2) | instskip(NEXT) | instid1(VALU_DEP_2)
	v_add_nc_u32_e32 v2, v2, v6
	v_mul_hi_u32 v6, v0, v3
	s_delay_alu instid0(VALU_DEP_2)
	v_mul_lo_u32 v7, v0, v2
	v_mul_hi_u32 v8, v0, v2
	v_mul_hi_u32 v9, v1, v3
	v_mul_lo_u32 v3, v1, v3
	v_mul_hi_u32 v10, v1, v2
	v_mul_lo_u32 v2, v1, v2
	v_add_co_u32 v6, vcc_lo, v6, v7
	v_add_co_ci_u32_e32 v7, vcc_lo, 0, v8, vcc_lo
	s_delay_alu instid0(VALU_DEP_2) | instskip(NEXT) | instid1(VALU_DEP_2)
	v_add_co_u32 v3, vcc_lo, v6, v3
	v_add_co_ci_u32_e32 v3, vcc_lo, v7, v9, vcc_lo
	v_add_co_ci_u32_e32 v6, vcc_lo, 0, v10, vcc_lo
	s_delay_alu instid0(VALU_DEP_2) | instskip(NEXT) | instid1(VALU_DEP_2)
	v_add_co_u32 v2, vcc_lo, v3, v2
	v_add_co_ci_u32_e32 v3, vcc_lo, 0, v6, vcc_lo
	s_delay_alu instid0(VALU_DEP_2) | instskip(NEXT) | instid1(VALU_DEP_2)
	v_add_co_u32 v0, vcc_lo, v0, v2
	v_add_co_ci_u32_e32 v1, vcc_lo, v1, v3, vcc_lo
	s_delay_alu instid0(VALU_DEP_2) | instskip(SKIP_1) | instid1(VALU_DEP_3)
	v_mul_hi_u32 v2, s2, v0
	v_mul_lo_u32 v6, s5, v0
	v_mul_lo_u32 v3, s2, v1
	s_delay_alu instid0(VALU_DEP_1) | instskip(SKIP_1) | instid1(VALU_DEP_2)
	v_add_nc_u32_e32 v2, v2, v3
	v_mul_lo_u32 v3, s2, v0
	v_add_nc_u32_e32 v2, v2, v6
	s_delay_alu instid0(VALU_DEP_2) | instskip(NEXT) | instid1(VALU_DEP_2)
	v_mul_hi_u32 v6, v0, v3
	v_mul_lo_u32 v7, v0, v2
	v_mul_hi_u32 v8, v0, v2
	v_mul_hi_u32 v9, v1, v3
	v_mul_lo_u32 v3, v1, v3
	v_mul_hi_u32 v10, v1, v2
	v_mul_lo_u32 v2, v1, v2
	v_add_co_u32 v6, vcc_lo, v6, v7
	v_add_co_ci_u32_e32 v7, vcc_lo, 0, v8, vcc_lo
	s_delay_alu instid0(VALU_DEP_2) | instskip(NEXT) | instid1(VALU_DEP_2)
	v_add_co_u32 v3, vcc_lo, v6, v3
	v_add_co_ci_u32_e32 v3, vcc_lo, v7, v9, vcc_lo
	v_add_co_ci_u32_e32 v6, vcc_lo, 0, v10, vcc_lo
	s_delay_alu instid0(VALU_DEP_2) | instskip(NEXT) | instid1(VALU_DEP_2)
	v_add_co_u32 v2, vcc_lo, v3, v2
	v_add_co_ci_u32_e32 v3, vcc_lo, 0, v6, vcc_lo
	s_delay_alu instid0(VALU_DEP_2) | instskip(NEXT) | instid1(VALU_DEP_2)
	v_add_co_u32 v6, vcc_lo, v0, v2
	v_add_co_ci_u32_e32 v8, vcc_lo, v1, v3, vcc_lo
	s_delay_alu instid0(VALU_DEP_2) | instskip(SKIP_1) | instid1(VALU_DEP_3)
	v_mul_hi_u32 v9, v4, v6
	v_mad_u64_u32 v[2:3], null, v5, v6, 0
	v_mad_u64_u32 v[0:1], null, v4, v8, 0
	;; [unrolled: 1-line block ×3, first 2 shown]
	s_delay_alu instid0(VALU_DEP_2) | instskip(NEXT) | instid1(VALU_DEP_3)
	v_add_co_u32 v0, vcc_lo, v9, v0
	v_add_co_ci_u32_e32 v1, vcc_lo, 0, v1, vcc_lo
	s_delay_alu instid0(VALU_DEP_2) | instskip(NEXT) | instid1(VALU_DEP_2)
	v_add_co_u32 v0, vcc_lo, v0, v2
	v_add_co_ci_u32_e32 v0, vcc_lo, v1, v3, vcc_lo
	v_add_co_ci_u32_e32 v1, vcc_lo, 0, v7, vcc_lo
	s_delay_alu instid0(VALU_DEP_2) | instskip(NEXT) | instid1(VALU_DEP_2)
	v_add_co_u32 v2, vcc_lo, v0, v6
	v_add_co_ci_u32_e32 v3, vcc_lo, 0, v1, vcc_lo
	s_delay_alu instid0(VALU_DEP_2) | instskip(SKIP_1) | instid1(VALU_DEP_3)
	v_mul_lo_u32 v6, s7, v2
	v_mad_u64_u32 v[0:1], null, s6, v2, 0
	v_mul_lo_u32 v7, s6, v3
	s_delay_alu instid0(VALU_DEP_2) | instskip(NEXT) | instid1(VALU_DEP_2)
	v_sub_co_u32 v0, vcc_lo, v4, v0
	v_add3_u32 v1, v1, v7, v6
	s_delay_alu instid0(VALU_DEP_1) | instskip(NEXT) | instid1(VALU_DEP_1)
	v_sub_nc_u32_e32 v6, v5, v1
	v_subrev_co_ci_u32_e64 v6, s2, s7, v6, vcc_lo
	v_add_co_u32 v7, s2, v2, 2
	s_delay_alu instid0(VALU_DEP_1) | instskip(SKIP_3) | instid1(VALU_DEP_3)
	v_add_co_ci_u32_e64 v8, s2, 0, v3, s2
	v_sub_co_u32 v9, s2, v0, s6
	v_sub_co_ci_u32_e32 v1, vcc_lo, v5, v1, vcc_lo
	v_subrev_co_ci_u32_e64 v6, s2, 0, v6, s2
	v_cmp_le_u32_e32 vcc_lo, s6, v9
	s_delay_alu instid0(VALU_DEP_3) | instskip(SKIP_1) | instid1(VALU_DEP_4)
	v_cmp_eq_u32_e64 s2, s7, v1
	v_cndmask_b32_e64 v9, 0, -1, vcc_lo
	v_cmp_le_u32_e32 vcc_lo, s7, v6
	v_cndmask_b32_e64 v10, 0, -1, vcc_lo
	v_cmp_le_u32_e32 vcc_lo, s6, v0
	;; [unrolled: 2-line block ×3, first 2 shown]
	v_cndmask_b32_e64 v11, 0, -1, vcc_lo
	v_cmp_eq_u32_e32 vcc_lo, s7, v6
	s_delay_alu instid0(VALU_DEP_2) | instskip(SKIP_3) | instid1(VALU_DEP_3)
	v_cndmask_b32_e64 v0, v11, v0, s2
	v_cndmask_b32_e32 v6, v10, v9, vcc_lo
	v_add_co_u32 v9, vcc_lo, v2, 1
	v_add_co_ci_u32_e32 v10, vcc_lo, 0, v3, vcc_lo
	v_cmp_ne_u32_e32 vcc_lo, 0, v6
	s_delay_alu instid0(VALU_DEP_2) | instskip(SKIP_1) | instid1(VALU_DEP_2)
	v_dual_cndmask_b32 v1, v10, v8 :: v_dual_cndmask_b32 v6, v9, v7
	v_cmp_ne_u32_e32 vcc_lo, 0, v0
	v_dual_cndmask_b32 v0, v3, v1 :: v_dual_cndmask_b32 v1, v2, v6
	s_delay_alu instid0(VALU_DEP_1) | instskip(NEXT) | instid1(VALU_DEP_2)
	v_xor_b32_e32 v2, s4, v0
	v_xor_b32_e32 v1, s4, v1
	s_delay_alu instid0(VALU_DEP_1) | instskip(NEXT) | instid1(VALU_DEP_3)
	v_sub_co_u32 v0, vcc_lo, v1, s4
	v_subrev_co_ci_u32_e32 v1, vcc_lo, s4, v2, vcc_lo
.LBB7_3:
	s_and_not1_saveexec_b32 s2, s11
	s_cbranch_execz .LBB7_5
; %bb.4:
	v_cvt_f32_u32_e32 v0, s10
	s_sub_i32 s4, 0, s10
	s_delay_alu instid0(VALU_DEP_1) | instskip(SKIP_2) | instid1(VALU_DEP_1)
	v_rcp_iflag_f32_e32 v0, v0
	s_waitcnt_depctr 0xfff
	v_mul_f32_e32 v0, 0x4f7ffffe, v0
	v_cvt_u32_f32_e32 v0, v0
	s_delay_alu instid0(VALU_DEP_1) | instskip(NEXT) | instid1(VALU_DEP_1)
	v_mul_lo_u32 v1, s4, v0
	v_mul_hi_u32 v1, v0, v1
	s_delay_alu instid0(VALU_DEP_1) | instskip(NEXT) | instid1(VALU_DEP_1)
	v_add_nc_u32_e32 v0, v0, v1
	v_mul_hi_u32 v0, v4, v0
	s_delay_alu instid0(VALU_DEP_1) | instskip(SKIP_1) | instid1(VALU_DEP_2)
	v_mul_lo_u32 v1, v0, s10
	v_add_nc_u32_e32 v2, 1, v0
	v_sub_nc_u32_e32 v1, v4, v1
	s_delay_alu instid0(VALU_DEP_1) | instskip(SKIP_1) | instid1(VALU_DEP_2)
	v_subrev_nc_u32_e32 v3, s10, v1
	v_cmp_le_u32_e32 vcc_lo, s10, v1
	v_dual_cndmask_b32 v1, v1, v3 :: v_dual_cndmask_b32 v0, v0, v2
	s_delay_alu instid0(VALU_DEP_1) | instskip(NEXT) | instid1(VALU_DEP_2)
	v_cmp_le_u32_e32 vcc_lo, s10, v1
	v_dual_mov_b32 v1, 0 :: v_dual_add_nc_u32 v2, 1, v0
	s_delay_alu instid0(VALU_DEP_1)
	v_cndmask_b32_e32 v0, v0, v2, vcc_lo
.LBB7_5:
	s_or_b32 exec_lo, exec_lo, s2
	s_delay_alu instid0(VALU_DEP_1) | instskip(NEXT) | instid1(VALU_DEP_2)
	v_mul_lo_u32 v6, s9, v0
	v_mul_lo_u32 v7, s10, v1
	v_mad_u64_u32 v[2:3], null, s10, v0, 0
	s_delay_alu instid0(VALU_DEP_1) | instskip(NEXT) | instid1(VALU_DEP_2)
	v_add3_u32 v3, v3, v7, v6
	v_sub_co_u32 v6, vcc_lo, v4, v2
	v_mov_b32_e32 v2, 0
	s_delay_alu instid0(VALU_DEP_3) | instskip(NEXT) | instid1(VALU_DEP_1)
	v_sub_co_ci_u32_e32 v7, vcc_lo, v5, v3, vcc_lo
	v_or_b32_e32 v3, s8, v7
	s_delay_alu instid0(VALU_DEP_1) | instskip(SKIP_1) | instid1(SALU_CYCLE_1)
	v_cmp_ne_u64_e32 vcc_lo, 0, v[2:3]
                                        ; implicit-def: $vgpr2_vgpr3
	s_and_saveexec_b32 s2, vcc_lo
	s_xor_b32 s9, exec_lo, s2
	s_cbranch_execz .LBB7_7
; %bb.6:
	s_ashr_i32 s4, s8, 31
	s_delay_alu instid0(SALU_CYCLE_1) | instskip(SKIP_2) | instid1(SALU_CYCLE_1)
	s_add_u32 s6, s3, s4
	s_mov_b32 s5, s4
	s_addc_u32 s7, s8, s4
	s_xor_b64 s[6:7], s[6:7], s[4:5]
	s_delay_alu instid0(SALU_CYCLE_1) | instskip(SKIP_3) | instid1(VALU_DEP_1)
	v_cvt_f32_u32_e32 v2, s6
	v_cvt_f32_u32_e32 v3, s7
	s_sub_u32 s2, 0, s6
	s_subb_u32 s5, 0, s7
	v_fmamk_f32 v2, v3, 0x4f800000, v2
	s_delay_alu instid0(VALU_DEP_1) | instskip(SKIP_2) | instid1(VALU_DEP_1)
	v_rcp_f32_e32 v2, v2
	s_waitcnt_depctr 0xfff
	v_mul_f32_e32 v2, 0x5f7ffffc, v2
	v_mul_f32_e32 v3, 0x2f800000, v2
	s_delay_alu instid0(VALU_DEP_1) | instskip(NEXT) | instid1(VALU_DEP_1)
	v_trunc_f32_e32 v3, v3
	v_fmamk_f32 v2, v3, 0xcf800000, v2
	v_cvt_u32_f32_e32 v3, v3
	s_delay_alu instid0(VALU_DEP_2) | instskip(NEXT) | instid1(VALU_DEP_2)
	v_cvt_u32_f32_e32 v2, v2
	v_mul_lo_u32 v8, s2, v3
	s_delay_alu instid0(VALU_DEP_2) | instskip(SKIP_1) | instid1(VALU_DEP_2)
	v_mul_hi_u32 v9, s2, v2
	v_mul_lo_u32 v10, s5, v2
	v_add_nc_u32_e32 v8, v9, v8
	v_mul_lo_u32 v9, s2, v2
	s_delay_alu instid0(VALU_DEP_2) | instskip(NEXT) | instid1(VALU_DEP_2)
	v_add_nc_u32_e32 v8, v8, v10
	v_mul_hi_u32 v10, v2, v9
	s_delay_alu instid0(VALU_DEP_2)
	v_mul_lo_u32 v11, v2, v8
	v_mul_hi_u32 v12, v2, v8
	v_mul_hi_u32 v13, v3, v9
	v_mul_lo_u32 v9, v3, v9
	v_mul_hi_u32 v14, v3, v8
	v_mul_lo_u32 v8, v3, v8
	v_add_co_u32 v10, vcc_lo, v10, v11
	v_add_co_ci_u32_e32 v11, vcc_lo, 0, v12, vcc_lo
	s_delay_alu instid0(VALU_DEP_2) | instskip(NEXT) | instid1(VALU_DEP_2)
	v_add_co_u32 v9, vcc_lo, v10, v9
	v_add_co_ci_u32_e32 v9, vcc_lo, v11, v13, vcc_lo
	v_add_co_ci_u32_e32 v10, vcc_lo, 0, v14, vcc_lo
	v_ashrrev_i32_e32 v13, 31, v7
	s_delay_alu instid0(VALU_DEP_3) | instskip(NEXT) | instid1(VALU_DEP_3)
	v_add_co_u32 v8, vcc_lo, v9, v8
	v_add_co_ci_u32_e32 v9, vcc_lo, 0, v10, vcc_lo
	s_delay_alu instid0(VALU_DEP_2) | instskip(NEXT) | instid1(VALU_DEP_2)
	v_add_co_u32 v2, vcc_lo, v2, v8
	v_add_co_ci_u32_e32 v3, vcc_lo, v3, v9, vcc_lo
	s_delay_alu instid0(VALU_DEP_2) | instskip(SKIP_1) | instid1(VALU_DEP_3)
	v_mul_hi_u32 v8, s2, v2
	v_mul_lo_u32 v10, s5, v2
	v_mul_lo_u32 v9, s2, v3
	s_delay_alu instid0(VALU_DEP_1) | instskip(SKIP_1) | instid1(VALU_DEP_2)
	v_add_nc_u32_e32 v8, v8, v9
	v_mul_lo_u32 v9, s2, v2
	v_add_nc_u32_e32 v8, v8, v10
	s_delay_alu instid0(VALU_DEP_2) | instskip(NEXT) | instid1(VALU_DEP_2)
	v_mul_hi_u32 v10, v2, v9
	v_mul_lo_u32 v11, v2, v8
	v_mul_hi_u32 v12, v2, v8
	v_mul_hi_u32 v14, v3, v9
	v_mul_lo_u32 v9, v3, v9
	v_mul_hi_u32 v15, v3, v8
	v_mul_lo_u32 v8, v3, v8
	v_add_co_u32 v10, vcc_lo, v10, v11
	v_add_co_ci_u32_e32 v11, vcc_lo, 0, v12, vcc_lo
	s_delay_alu instid0(VALU_DEP_2) | instskip(NEXT) | instid1(VALU_DEP_2)
	v_add_co_u32 v9, vcc_lo, v10, v9
	v_add_co_ci_u32_e32 v9, vcc_lo, v11, v14, vcc_lo
	v_add_co_ci_u32_e32 v10, vcc_lo, 0, v15, vcc_lo
	v_add_co_u32 v11, vcc_lo, v6, v13
	v_add_co_ci_u32_e32 v12, vcc_lo, v7, v13, vcc_lo
	s_delay_alu instid0(VALU_DEP_4) | instskip(NEXT) | instid1(VALU_DEP_4)
	v_add_co_u32 v8, vcc_lo, v9, v8
	v_add_co_ci_u32_e32 v9, vcc_lo, 0, v10, vcc_lo
	s_delay_alu instid0(VALU_DEP_4) | instskip(NEXT) | instid1(VALU_DEP_3)
	v_xor_b32_e32 v14, v11, v13
	v_add_co_u32 v10, vcc_lo, v2, v8
	s_delay_alu instid0(VALU_DEP_3) | instskip(SKIP_1) | instid1(VALU_DEP_3)
	v_add_co_ci_u32_e32 v15, vcc_lo, v3, v9, vcc_lo
	v_xor_b32_e32 v12, v12, v13
	v_mul_hi_u32 v16, v14, v10
	s_delay_alu instid0(VALU_DEP_3) | instskip(NEXT) | instid1(VALU_DEP_3)
	v_mad_u64_u32 v[2:3], null, v14, v15, 0
	v_mad_u64_u32 v[8:9], null, v12, v10, 0
	;; [unrolled: 1-line block ×3, first 2 shown]
	s_delay_alu instid0(VALU_DEP_3) | instskip(NEXT) | instid1(VALU_DEP_4)
	v_add_co_u32 v2, vcc_lo, v16, v2
	v_add_co_ci_u32_e32 v3, vcc_lo, 0, v3, vcc_lo
	s_delay_alu instid0(VALU_DEP_2) | instskip(NEXT) | instid1(VALU_DEP_2)
	v_add_co_u32 v2, vcc_lo, v2, v8
	v_add_co_ci_u32_e32 v2, vcc_lo, v3, v9, vcc_lo
	v_add_co_ci_u32_e32 v3, vcc_lo, 0, v11, vcc_lo
	s_delay_alu instid0(VALU_DEP_2) | instskip(NEXT) | instid1(VALU_DEP_2)
	v_add_co_u32 v8, vcc_lo, v2, v10
	v_add_co_ci_u32_e32 v9, vcc_lo, 0, v3, vcc_lo
	s_delay_alu instid0(VALU_DEP_2) | instskip(SKIP_1) | instid1(VALU_DEP_3)
	v_mul_lo_u32 v10, s7, v8
	v_mad_u64_u32 v[2:3], null, s6, v8, 0
	v_mul_lo_u32 v11, s6, v9
	s_delay_alu instid0(VALU_DEP_2) | instskip(NEXT) | instid1(VALU_DEP_2)
	v_sub_co_u32 v2, vcc_lo, v14, v2
	v_add3_u32 v3, v3, v11, v10
	s_delay_alu instid0(VALU_DEP_1) | instskip(NEXT) | instid1(VALU_DEP_1)
	v_sub_nc_u32_e32 v10, v12, v3
	v_subrev_co_ci_u32_e64 v10, s2, s7, v10, vcc_lo
	v_add_co_u32 v11, s2, v8, 2
	s_delay_alu instid0(VALU_DEP_1) | instskip(SKIP_3) | instid1(VALU_DEP_3)
	v_add_co_ci_u32_e64 v14, s2, 0, v9, s2
	v_sub_co_u32 v15, s2, v2, s6
	v_sub_co_ci_u32_e32 v3, vcc_lo, v12, v3, vcc_lo
	v_subrev_co_ci_u32_e64 v10, s2, 0, v10, s2
	v_cmp_le_u32_e32 vcc_lo, s6, v15
	s_delay_alu instid0(VALU_DEP_3) | instskip(SKIP_1) | instid1(VALU_DEP_4)
	v_cmp_eq_u32_e64 s2, s7, v3
	v_cndmask_b32_e64 v12, 0, -1, vcc_lo
	v_cmp_le_u32_e32 vcc_lo, s7, v10
	v_cndmask_b32_e64 v15, 0, -1, vcc_lo
	v_cmp_le_u32_e32 vcc_lo, s6, v2
	;; [unrolled: 2-line block ×3, first 2 shown]
	v_cndmask_b32_e64 v16, 0, -1, vcc_lo
	v_cmp_eq_u32_e32 vcc_lo, s7, v10
	s_delay_alu instid0(VALU_DEP_2) | instskip(SKIP_3) | instid1(VALU_DEP_3)
	v_cndmask_b32_e64 v2, v16, v2, s2
	v_cndmask_b32_e32 v10, v15, v12, vcc_lo
	v_add_co_u32 v12, vcc_lo, v8, 1
	v_add_co_ci_u32_e32 v15, vcc_lo, 0, v9, vcc_lo
	v_cmp_ne_u32_e32 vcc_lo, 0, v10
	s_delay_alu instid0(VALU_DEP_2) | instskip(SKIP_2) | instid1(VALU_DEP_3)
	v_dual_cndmask_b32 v3, v15, v14 :: v_dual_cndmask_b32 v10, v12, v11
	v_cmp_ne_u32_e32 vcc_lo, 0, v2
	v_xor_b32_e32 v11, s4, v13
	v_dual_cndmask_b32 v2, v9, v3 :: v_dual_cndmask_b32 v3, v8, v10
	s_delay_alu instid0(VALU_DEP_1) | instskip(NEXT) | instid1(VALU_DEP_2)
	v_xor_b32_e32 v8, v2, v11
	v_xor_b32_e32 v3, v3, v11
	s_delay_alu instid0(VALU_DEP_1) | instskip(NEXT) | instid1(VALU_DEP_3)
	v_sub_co_u32 v2, vcc_lo, v3, v11
	v_sub_co_ci_u32_e32 v3, vcc_lo, v8, v11, vcc_lo
.LBB7_7:
	s_and_not1_saveexec_b32 s2, s9
	s_cbranch_execz .LBB7_9
; %bb.8:
	v_cvt_f32_u32_e32 v2, s3
	s_sub_i32 s4, 0, s3
	s_delay_alu instid0(VALU_DEP_1) | instskip(SKIP_2) | instid1(VALU_DEP_1)
	v_rcp_iflag_f32_e32 v2, v2
	s_waitcnt_depctr 0xfff
	v_mul_f32_e32 v2, 0x4f7ffffe, v2
	v_cvt_u32_f32_e32 v2, v2
	s_delay_alu instid0(VALU_DEP_1) | instskip(NEXT) | instid1(VALU_DEP_1)
	v_mul_lo_u32 v3, s4, v2
	v_mul_hi_u32 v3, v2, v3
	s_delay_alu instid0(VALU_DEP_1) | instskip(NEXT) | instid1(VALU_DEP_1)
	v_add_nc_u32_e32 v2, v2, v3
	v_mul_hi_u32 v2, v6, v2
	s_delay_alu instid0(VALU_DEP_1) | instskip(SKIP_1) | instid1(VALU_DEP_2)
	v_mul_lo_u32 v3, v2, s3
	v_add_nc_u32_e32 v8, 1, v2
	v_sub_nc_u32_e32 v3, v6, v3
	s_delay_alu instid0(VALU_DEP_1) | instskip(SKIP_1) | instid1(VALU_DEP_2)
	v_subrev_nc_u32_e32 v9, s3, v3
	v_cmp_le_u32_e32 vcc_lo, s3, v3
	v_dual_cndmask_b32 v3, v3, v9 :: v_dual_cndmask_b32 v2, v2, v8
	s_delay_alu instid0(VALU_DEP_1) | instskip(NEXT) | instid1(VALU_DEP_2)
	v_cmp_le_u32_e32 vcc_lo, s3, v3
	v_dual_mov_b32 v3, 0 :: v_dual_add_nc_u32 v8, 1, v2
	s_delay_alu instid0(VALU_DEP_1)
	v_cndmask_b32_e32 v2, v2, v8, vcc_lo
.LBB7_9:
	s_or_b32 exec_lo, exec_lo, s2
	s_delay_alu instid0(VALU_DEP_1) | instskip(NEXT) | instid1(VALU_DEP_2)
	v_mul_lo_u32 v10, s8, v2
	v_mul_lo_u32 v11, s3, v3
	v_mad_u64_u32 v[8:9], null, s3, v2, 0
	s_delay_alu instid0(VALU_DEP_1) | instskip(NEXT) | instid1(VALU_DEP_2)
	v_add3_u32 v9, v9, v11, v10
	v_sub_co_u32 v12, vcc_lo, v6, v8
	v_mov_b32_e32 v6, 0
	s_delay_alu instid0(VALU_DEP_3) | instskip(NEXT) | instid1(VALU_DEP_1)
	v_sub_co_ci_u32_e32 v13, vcc_lo, v7, v9, vcc_lo
	v_or_b32_e32 v7, s23, v13
	s_delay_alu instid0(VALU_DEP_1) | instskip(SKIP_1) | instid1(SALU_CYCLE_1)
	v_cmp_ne_u64_e32 vcc_lo, 0, v[6:7]
                                        ; implicit-def: $vgpr6_vgpr7
	s_and_saveexec_b32 s2, vcc_lo
	s_xor_b32 s3, exec_lo, s2
	s_cbranch_execz .LBB7_11
; %bb.10:
	s_ashr_i32 s4, s23, 31
	s_delay_alu instid0(SALU_CYCLE_1) | instskip(SKIP_2) | instid1(SALU_CYCLE_1)
	s_add_u32 s6, s22, s4
	s_mov_b32 s5, s4
	s_addc_u32 s7, s23, s4
	s_xor_b64 s[6:7], s[6:7], s[4:5]
	s_delay_alu instid0(SALU_CYCLE_1) | instskip(SKIP_3) | instid1(VALU_DEP_1)
	v_cvt_f32_u32_e32 v6, s6
	v_cvt_f32_u32_e32 v7, s7
	s_sub_u32 s2, 0, s6
	s_subb_u32 s5, 0, s7
	v_fmamk_f32 v6, v7, 0x4f800000, v6
	s_delay_alu instid0(VALU_DEP_1) | instskip(SKIP_2) | instid1(VALU_DEP_1)
	v_rcp_f32_e32 v6, v6
	s_waitcnt_depctr 0xfff
	v_mul_f32_e32 v6, 0x5f7ffffc, v6
	v_mul_f32_e32 v7, 0x2f800000, v6
	s_delay_alu instid0(VALU_DEP_1) | instskip(NEXT) | instid1(VALU_DEP_1)
	v_trunc_f32_e32 v7, v7
	v_fmamk_f32 v6, v7, 0xcf800000, v6
	v_cvt_u32_f32_e32 v7, v7
	s_delay_alu instid0(VALU_DEP_2) | instskip(NEXT) | instid1(VALU_DEP_2)
	v_cvt_u32_f32_e32 v6, v6
	v_mul_lo_u32 v8, s2, v7
	s_delay_alu instid0(VALU_DEP_2) | instskip(SKIP_1) | instid1(VALU_DEP_2)
	v_mul_hi_u32 v9, s2, v6
	v_mul_lo_u32 v10, s5, v6
	v_add_nc_u32_e32 v8, v9, v8
	v_mul_lo_u32 v9, s2, v6
	s_delay_alu instid0(VALU_DEP_2) | instskip(NEXT) | instid1(VALU_DEP_2)
	v_add_nc_u32_e32 v8, v8, v10
	v_mul_hi_u32 v10, v6, v9
	s_delay_alu instid0(VALU_DEP_2)
	v_mul_lo_u32 v11, v6, v8
	v_mul_hi_u32 v14, v6, v8
	v_mul_hi_u32 v15, v7, v9
	v_mul_lo_u32 v9, v7, v9
	v_mul_hi_u32 v16, v7, v8
	v_mul_lo_u32 v8, v7, v8
	v_add_co_u32 v10, vcc_lo, v10, v11
	v_add_co_ci_u32_e32 v11, vcc_lo, 0, v14, vcc_lo
	s_delay_alu instid0(VALU_DEP_2) | instskip(NEXT) | instid1(VALU_DEP_2)
	v_add_co_u32 v9, vcc_lo, v10, v9
	v_add_co_ci_u32_e32 v9, vcc_lo, v11, v15, vcc_lo
	v_add_co_ci_u32_e32 v10, vcc_lo, 0, v16, vcc_lo
	v_ashrrev_i32_e32 v15, 31, v13
	s_delay_alu instid0(VALU_DEP_3) | instskip(NEXT) | instid1(VALU_DEP_3)
	v_add_co_u32 v8, vcc_lo, v9, v8
	v_add_co_ci_u32_e32 v9, vcc_lo, 0, v10, vcc_lo
	s_delay_alu instid0(VALU_DEP_2) | instskip(NEXT) | instid1(VALU_DEP_2)
	v_add_co_u32 v6, vcc_lo, v6, v8
	v_add_co_ci_u32_e32 v7, vcc_lo, v7, v9, vcc_lo
	s_delay_alu instid0(VALU_DEP_2) | instskip(SKIP_1) | instid1(VALU_DEP_3)
	v_mul_hi_u32 v8, s2, v6
	v_mul_lo_u32 v10, s5, v6
	v_mul_lo_u32 v9, s2, v7
	s_delay_alu instid0(VALU_DEP_1) | instskip(SKIP_1) | instid1(VALU_DEP_2)
	v_add_nc_u32_e32 v8, v8, v9
	v_mul_lo_u32 v9, s2, v6
	v_add_nc_u32_e32 v8, v8, v10
	s_delay_alu instid0(VALU_DEP_2) | instskip(NEXT) | instid1(VALU_DEP_2)
	v_mul_hi_u32 v10, v6, v9
	v_mul_lo_u32 v11, v6, v8
	v_mul_hi_u32 v14, v6, v8
	v_mul_hi_u32 v16, v7, v9
	v_mul_lo_u32 v9, v7, v9
	v_mul_hi_u32 v17, v7, v8
	v_mul_lo_u32 v8, v7, v8
	v_add_co_u32 v10, vcc_lo, v10, v11
	v_add_co_ci_u32_e32 v11, vcc_lo, 0, v14, vcc_lo
	s_delay_alu instid0(VALU_DEP_2) | instskip(NEXT) | instid1(VALU_DEP_2)
	v_add_co_u32 v9, vcc_lo, v10, v9
	v_add_co_ci_u32_e32 v9, vcc_lo, v11, v16, vcc_lo
	v_add_co_ci_u32_e32 v10, vcc_lo, 0, v17, vcc_lo
	v_add_co_u32 v11, vcc_lo, v12, v15
	v_add_co_ci_u32_e32 v14, vcc_lo, v13, v15, vcc_lo
	s_delay_alu instid0(VALU_DEP_4) | instskip(NEXT) | instid1(VALU_DEP_4)
	v_add_co_u32 v8, vcc_lo, v9, v8
	v_add_co_ci_u32_e32 v9, vcc_lo, 0, v10, vcc_lo
	s_delay_alu instid0(VALU_DEP_4) | instskip(NEXT) | instid1(VALU_DEP_3)
	v_xor_b32_e32 v16, v11, v15
	v_add_co_u32 v10, vcc_lo, v6, v8
	s_delay_alu instid0(VALU_DEP_3) | instskip(SKIP_1) | instid1(VALU_DEP_3)
	v_add_co_ci_u32_e32 v17, vcc_lo, v7, v9, vcc_lo
	v_xor_b32_e32 v14, v14, v15
	v_mul_hi_u32 v18, v16, v10
	s_delay_alu instid0(VALU_DEP_3) | instskip(NEXT) | instid1(VALU_DEP_3)
	v_mad_u64_u32 v[6:7], null, v16, v17, 0
	v_mad_u64_u32 v[8:9], null, v14, v10, 0
	;; [unrolled: 1-line block ×3, first 2 shown]
	s_delay_alu instid0(VALU_DEP_3) | instskip(NEXT) | instid1(VALU_DEP_4)
	v_add_co_u32 v6, vcc_lo, v18, v6
	v_add_co_ci_u32_e32 v7, vcc_lo, 0, v7, vcc_lo
	s_delay_alu instid0(VALU_DEP_2) | instskip(NEXT) | instid1(VALU_DEP_2)
	v_add_co_u32 v6, vcc_lo, v6, v8
	v_add_co_ci_u32_e32 v6, vcc_lo, v7, v9, vcc_lo
	v_add_co_ci_u32_e32 v7, vcc_lo, 0, v11, vcc_lo
	s_delay_alu instid0(VALU_DEP_2) | instskip(NEXT) | instid1(VALU_DEP_2)
	v_add_co_u32 v8, vcc_lo, v6, v10
	v_add_co_ci_u32_e32 v9, vcc_lo, 0, v7, vcc_lo
	s_delay_alu instid0(VALU_DEP_2) | instskip(SKIP_1) | instid1(VALU_DEP_3)
	v_mul_lo_u32 v10, s7, v8
	v_mad_u64_u32 v[6:7], null, s6, v8, 0
	v_mul_lo_u32 v11, s6, v9
	s_delay_alu instid0(VALU_DEP_2) | instskip(NEXT) | instid1(VALU_DEP_2)
	v_sub_co_u32 v6, vcc_lo, v16, v6
	v_add3_u32 v7, v7, v11, v10
	s_delay_alu instid0(VALU_DEP_1) | instskip(NEXT) | instid1(VALU_DEP_1)
	v_sub_nc_u32_e32 v10, v14, v7
	v_subrev_co_ci_u32_e64 v10, s2, s7, v10, vcc_lo
	v_add_co_u32 v11, s2, v8, 2
	s_delay_alu instid0(VALU_DEP_1) | instskip(SKIP_3) | instid1(VALU_DEP_3)
	v_add_co_ci_u32_e64 v16, s2, 0, v9, s2
	v_sub_co_u32 v17, s2, v6, s6
	v_sub_co_ci_u32_e32 v7, vcc_lo, v14, v7, vcc_lo
	v_subrev_co_ci_u32_e64 v10, s2, 0, v10, s2
	v_cmp_le_u32_e32 vcc_lo, s6, v17
	s_delay_alu instid0(VALU_DEP_3) | instskip(SKIP_1) | instid1(VALU_DEP_4)
	v_cmp_eq_u32_e64 s2, s7, v7
	v_cndmask_b32_e64 v14, 0, -1, vcc_lo
	v_cmp_le_u32_e32 vcc_lo, s7, v10
	v_cndmask_b32_e64 v17, 0, -1, vcc_lo
	v_cmp_le_u32_e32 vcc_lo, s6, v6
	;; [unrolled: 2-line block ×3, first 2 shown]
	v_cndmask_b32_e64 v18, 0, -1, vcc_lo
	v_cmp_eq_u32_e32 vcc_lo, s7, v10
	s_delay_alu instid0(VALU_DEP_2) | instskip(SKIP_3) | instid1(VALU_DEP_3)
	v_cndmask_b32_e64 v6, v18, v6, s2
	v_cndmask_b32_e32 v10, v17, v14, vcc_lo
	v_add_co_u32 v14, vcc_lo, v8, 1
	v_add_co_ci_u32_e32 v17, vcc_lo, 0, v9, vcc_lo
	v_cmp_ne_u32_e32 vcc_lo, 0, v10
	s_delay_alu instid0(VALU_DEP_2) | instskip(SKIP_2) | instid1(VALU_DEP_3)
	v_dual_cndmask_b32 v7, v17, v16 :: v_dual_cndmask_b32 v10, v14, v11
	v_cmp_ne_u32_e32 vcc_lo, 0, v6
	v_xor_b32_e32 v11, s4, v15
	v_dual_cndmask_b32 v6, v9, v7 :: v_dual_cndmask_b32 v7, v8, v10
	s_delay_alu instid0(VALU_DEP_1) | instskip(NEXT) | instid1(VALU_DEP_2)
	v_xor_b32_e32 v8, v6, v11
	v_xor_b32_e32 v7, v7, v11
	s_delay_alu instid0(VALU_DEP_1) | instskip(NEXT) | instid1(VALU_DEP_3)
	v_sub_co_u32 v6, vcc_lo, v7, v11
	v_sub_co_ci_u32_e32 v7, vcc_lo, v8, v11, vcc_lo
.LBB7_11:
	s_and_not1_saveexec_b32 s2, s3
	s_cbranch_execz .LBB7_13
; %bb.12:
	v_cvt_f32_u32_e32 v6, s22
	s_sub_i32 s3, 0, s22
	s_delay_alu instid0(VALU_DEP_1) | instskip(SKIP_2) | instid1(VALU_DEP_1)
	v_rcp_iflag_f32_e32 v6, v6
	s_waitcnt_depctr 0xfff
	v_mul_f32_e32 v6, 0x4f7ffffe, v6
	v_cvt_u32_f32_e32 v6, v6
	s_delay_alu instid0(VALU_DEP_1) | instskip(NEXT) | instid1(VALU_DEP_1)
	v_mul_lo_u32 v7, s3, v6
	v_mul_hi_u32 v7, v6, v7
	s_delay_alu instid0(VALU_DEP_1) | instskip(NEXT) | instid1(VALU_DEP_1)
	v_add_nc_u32_e32 v6, v6, v7
	v_mul_hi_u32 v6, v12, v6
	s_delay_alu instid0(VALU_DEP_1) | instskip(SKIP_1) | instid1(VALU_DEP_2)
	v_mul_lo_u32 v7, v6, s22
	v_add_nc_u32_e32 v8, 1, v6
	v_sub_nc_u32_e32 v7, v12, v7
	s_delay_alu instid0(VALU_DEP_1) | instskip(SKIP_1) | instid1(VALU_DEP_2)
	v_subrev_nc_u32_e32 v9, s22, v7
	v_cmp_le_u32_e32 vcc_lo, s22, v7
	v_dual_cndmask_b32 v7, v7, v9 :: v_dual_cndmask_b32 v6, v6, v8
	s_delay_alu instid0(VALU_DEP_1) | instskip(NEXT) | instid1(VALU_DEP_2)
	v_cmp_le_u32_e32 vcc_lo, s22, v7
	v_dual_mov_b32 v7, 0 :: v_dual_add_nc_u32 v8, 1, v6
	s_delay_alu instid0(VALU_DEP_1)
	v_cndmask_b32_e32 v6, v6, v8, vcc_lo
.LBB7_13:
	s_or_b32 exec_lo, exec_lo, s2
	s_load_b512 s[36:51], s[0:1], 0x40
	v_mov_b32_e32 v8, 0
	s_waitcnt lgkmcnt(0)
	s_mul_i32 s2, s42, s41
	s_mul_hi_u32 s4, s42, s40
	s_mul_i32 s5, s43, s40
	s_mul_i32 s3, s42, s40
	s_add_i32 s8, s4, s2
	s_mul_i32 s2, s3, s45
	s_mul_hi_u32 s4, s3, s44
	s_add_i32 s8, s8, s5
	s_add_i32 s2, s4, s2
	s_mul_i32 s4, s8, s44
	s_mul_i32 s10, s3, s44
	s_add_i32 s9, s2, s4
	s_delay_alu instid0(SALU_CYCLE_1) | instskip(NEXT) | instid1(VALU_DEP_1)
	v_or_b32_e32 v9, s9, v5
	v_cmp_ne_u64_e32 vcc_lo, 0, v[8:9]
                                        ; implicit-def: $vgpr8_vgpr9
	s_and_saveexec_b32 s2, vcc_lo
	s_delay_alu instid0(SALU_CYCLE_1)
	s_xor_b32 s11, exec_lo, s2
	s_cbranch_execz .LBB7_15
; %bb.14:
	s_ashr_i32 s4, s9, 31
	s_delay_alu instid0(SALU_CYCLE_1) | instskip(SKIP_2) | instid1(SALU_CYCLE_1)
	s_add_u32 s6, s10, s4
	s_mov_b32 s5, s4
	s_addc_u32 s7, s9, s4
	s_xor_b64 s[6:7], s[6:7], s[4:5]
	s_delay_alu instid0(SALU_CYCLE_1) | instskip(SKIP_3) | instid1(VALU_DEP_1)
	v_cvt_f32_u32_e32 v8, s6
	v_cvt_f32_u32_e32 v9, s7
	s_sub_u32 s2, 0, s6
	s_subb_u32 s5, 0, s7
	v_fmamk_f32 v8, v9, 0x4f800000, v8
	s_delay_alu instid0(VALU_DEP_1) | instskip(SKIP_2) | instid1(VALU_DEP_1)
	v_rcp_f32_e32 v8, v8
	s_waitcnt_depctr 0xfff
	v_mul_f32_e32 v8, 0x5f7ffffc, v8
	v_mul_f32_e32 v9, 0x2f800000, v8
	s_delay_alu instid0(VALU_DEP_1) | instskip(NEXT) | instid1(VALU_DEP_1)
	v_trunc_f32_e32 v9, v9
	v_fmamk_f32 v8, v9, 0xcf800000, v8
	v_cvt_u32_f32_e32 v9, v9
	s_delay_alu instid0(VALU_DEP_2) | instskip(NEXT) | instid1(VALU_DEP_2)
	v_cvt_u32_f32_e32 v8, v8
	v_mul_lo_u32 v10, s2, v9
	s_delay_alu instid0(VALU_DEP_2) | instskip(SKIP_1) | instid1(VALU_DEP_2)
	v_mul_hi_u32 v11, s2, v8
	v_mul_lo_u32 v14, s5, v8
	v_add_nc_u32_e32 v10, v11, v10
	v_mul_lo_u32 v11, s2, v8
	s_delay_alu instid0(VALU_DEP_2) | instskip(NEXT) | instid1(VALU_DEP_2)
	v_add_nc_u32_e32 v10, v10, v14
	v_mul_hi_u32 v14, v8, v11
	s_delay_alu instid0(VALU_DEP_2)
	v_mul_lo_u32 v15, v8, v10
	v_mul_hi_u32 v16, v8, v10
	v_mul_hi_u32 v17, v9, v11
	v_mul_lo_u32 v11, v9, v11
	v_mul_hi_u32 v18, v9, v10
	v_mul_lo_u32 v10, v9, v10
	v_add_co_u32 v14, vcc_lo, v14, v15
	v_add_co_ci_u32_e32 v15, vcc_lo, 0, v16, vcc_lo
	s_delay_alu instid0(VALU_DEP_2) | instskip(NEXT) | instid1(VALU_DEP_2)
	v_add_co_u32 v11, vcc_lo, v14, v11
	v_add_co_ci_u32_e32 v11, vcc_lo, v15, v17, vcc_lo
	v_add_co_ci_u32_e32 v14, vcc_lo, 0, v18, vcc_lo
	s_delay_alu instid0(VALU_DEP_2) | instskip(NEXT) | instid1(VALU_DEP_2)
	v_add_co_u32 v10, vcc_lo, v11, v10
	v_add_co_ci_u32_e32 v11, vcc_lo, 0, v14, vcc_lo
	s_delay_alu instid0(VALU_DEP_2) | instskip(NEXT) | instid1(VALU_DEP_2)
	v_add_co_u32 v8, vcc_lo, v8, v10
	v_add_co_ci_u32_e32 v9, vcc_lo, v9, v11, vcc_lo
	s_delay_alu instid0(VALU_DEP_2) | instskip(SKIP_1) | instid1(VALU_DEP_3)
	v_mul_hi_u32 v10, s2, v8
	v_mul_lo_u32 v14, s5, v8
	v_mul_lo_u32 v11, s2, v9
	s_delay_alu instid0(VALU_DEP_1) | instskip(SKIP_1) | instid1(VALU_DEP_2)
	v_add_nc_u32_e32 v10, v10, v11
	v_mul_lo_u32 v11, s2, v8
	v_add_nc_u32_e32 v10, v10, v14
	s_delay_alu instid0(VALU_DEP_2) | instskip(NEXT) | instid1(VALU_DEP_2)
	v_mul_hi_u32 v14, v8, v11
	v_mul_lo_u32 v15, v8, v10
	v_mul_hi_u32 v16, v8, v10
	v_mul_hi_u32 v17, v9, v11
	v_mul_lo_u32 v11, v9, v11
	v_mul_hi_u32 v18, v9, v10
	v_mul_lo_u32 v10, v9, v10
	v_add_co_u32 v14, vcc_lo, v14, v15
	v_add_co_ci_u32_e32 v15, vcc_lo, 0, v16, vcc_lo
	s_delay_alu instid0(VALU_DEP_2) | instskip(NEXT) | instid1(VALU_DEP_2)
	v_add_co_u32 v11, vcc_lo, v14, v11
	v_add_co_ci_u32_e32 v11, vcc_lo, v15, v17, vcc_lo
	v_add_co_ci_u32_e32 v14, vcc_lo, 0, v18, vcc_lo
	s_delay_alu instid0(VALU_DEP_2) | instskip(NEXT) | instid1(VALU_DEP_2)
	v_add_co_u32 v10, vcc_lo, v11, v10
	v_add_co_ci_u32_e32 v11, vcc_lo, 0, v14, vcc_lo
	s_delay_alu instid0(VALU_DEP_2) | instskip(NEXT) | instid1(VALU_DEP_2)
	v_add_co_u32 v14, vcc_lo, v8, v10
	v_add_co_ci_u32_e32 v16, vcc_lo, v9, v11, vcc_lo
	s_delay_alu instid0(VALU_DEP_2) | instskip(SKIP_1) | instid1(VALU_DEP_3)
	v_mul_hi_u32 v17, v4, v14
	v_mad_u64_u32 v[10:11], null, v5, v14, 0
	v_mad_u64_u32 v[8:9], null, v4, v16, 0
	;; [unrolled: 1-line block ×3, first 2 shown]
	s_delay_alu instid0(VALU_DEP_2) | instskip(NEXT) | instid1(VALU_DEP_3)
	v_add_co_u32 v8, vcc_lo, v17, v8
	v_add_co_ci_u32_e32 v9, vcc_lo, 0, v9, vcc_lo
	s_delay_alu instid0(VALU_DEP_2) | instskip(NEXT) | instid1(VALU_DEP_2)
	v_add_co_u32 v8, vcc_lo, v8, v10
	v_add_co_ci_u32_e32 v8, vcc_lo, v9, v11, vcc_lo
	v_add_co_ci_u32_e32 v9, vcc_lo, 0, v15, vcc_lo
	s_delay_alu instid0(VALU_DEP_2) | instskip(NEXT) | instid1(VALU_DEP_2)
	v_add_co_u32 v10, vcc_lo, v8, v14
	v_add_co_ci_u32_e32 v11, vcc_lo, 0, v9, vcc_lo
	s_delay_alu instid0(VALU_DEP_2) | instskip(SKIP_1) | instid1(VALU_DEP_3)
	v_mul_lo_u32 v14, s7, v10
	v_mad_u64_u32 v[8:9], null, s6, v10, 0
	v_mul_lo_u32 v15, s6, v11
	s_delay_alu instid0(VALU_DEP_2) | instskip(NEXT) | instid1(VALU_DEP_2)
	v_sub_co_u32 v8, vcc_lo, v4, v8
	v_add3_u32 v9, v9, v15, v14
	s_delay_alu instid0(VALU_DEP_1) | instskip(NEXT) | instid1(VALU_DEP_1)
	v_sub_nc_u32_e32 v14, v5, v9
	v_subrev_co_ci_u32_e64 v14, s2, s7, v14, vcc_lo
	v_add_co_u32 v15, s2, v10, 2
	s_delay_alu instid0(VALU_DEP_1) | instskip(SKIP_3) | instid1(VALU_DEP_3)
	v_add_co_ci_u32_e64 v16, s2, 0, v11, s2
	v_sub_co_u32 v17, s2, v8, s6
	v_sub_co_ci_u32_e32 v9, vcc_lo, v5, v9, vcc_lo
	v_subrev_co_ci_u32_e64 v14, s2, 0, v14, s2
	v_cmp_le_u32_e32 vcc_lo, s6, v17
	s_delay_alu instid0(VALU_DEP_3) | instskip(SKIP_1) | instid1(VALU_DEP_4)
	v_cmp_eq_u32_e64 s2, s7, v9
	v_cndmask_b32_e64 v17, 0, -1, vcc_lo
	v_cmp_le_u32_e32 vcc_lo, s7, v14
	v_cndmask_b32_e64 v18, 0, -1, vcc_lo
	v_cmp_le_u32_e32 vcc_lo, s6, v8
	;; [unrolled: 2-line block ×3, first 2 shown]
	v_cndmask_b32_e64 v19, 0, -1, vcc_lo
	v_cmp_eq_u32_e32 vcc_lo, s7, v14
	s_delay_alu instid0(VALU_DEP_2) | instskip(SKIP_3) | instid1(VALU_DEP_3)
	v_cndmask_b32_e64 v8, v19, v8, s2
	v_cndmask_b32_e32 v14, v18, v17, vcc_lo
	v_add_co_u32 v17, vcc_lo, v10, 1
	v_add_co_ci_u32_e32 v18, vcc_lo, 0, v11, vcc_lo
	v_cmp_ne_u32_e32 vcc_lo, 0, v14
	s_delay_alu instid0(VALU_DEP_2) | instskip(SKIP_1) | instid1(VALU_DEP_2)
	v_dual_cndmask_b32 v9, v18, v16 :: v_dual_cndmask_b32 v14, v17, v15
	v_cmp_ne_u32_e32 vcc_lo, 0, v8
	v_dual_cndmask_b32 v8, v11, v9 :: v_dual_cndmask_b32 v9, v10, v14
	s_delay_alu instid0(VALU_DEP_1) | instskip(NEXT) | instid1(VALU_DEP_2)
	v_xor_b32_e32 v10, s4, v8
	v_xor_b32_e32 v9, s4, v9
	s_delay_alu instid0(VALU_DEP_1) | instskip(NEXT) | instid1(VALU_DEP_3)
	v_sub_co_u32 v8, vcc_lo, v9, s4
	v_subrev_co_ci_u32_e32 v9, vcc_lo, s4, v10, vcc_lo
.LBB7_15:
	s_and_not1_saveexec_b32 s2, s11
	s_cbranch_execz .LBB7_17
; %bb.16:
	v_cvt_f32_u32_e32 v8, s10
	s_sub_i32 s4, 0, s10
	s_delay_alu instid0(VALU_DEP_1) | instskip(SKIP_2) | instid1(VALU_DEP_1)
	v_rcp_iflag_f32_e32 v8, v8
	s_waitcnt_depctr 0xfff
	v_mul_f32_e32 v8, 0x4f7ffffe, v8
	v_cvt_u32_f32_e32 v8, v8
	s_delay_alu instid0(VALU_DEP_1) | instskip(NEXT) | instid1(VALU_DEP_1)
	v_mul_lo_u32 v9, s4, v8
	v_mul_hi_u32 v9, v8, v9
	s_delay_alu instid0(VALU_DEP_1) | instskip(NEXT) | instid1(VALU_DEP_1)
	v_add_nc_u32_e32 v8, v8, v9
	v_mul_hi_u32 v8, v4, v8
	s_delay_alu instid0(VALU_DEP_1) | instskip(SKIP_1) | instid1(VALU_DEP_2)
	v_mul_lo_u32 v9, v8, s10
	v_add_nc_u32_e32 v10, 1, v8
	v_sub_nc_u32_e32 v9, v4, v9
	s_delay_alu instid0(VALU_DEP_1) | instskip(SKIP_1) | instid1(VALU_DEP_2)
	v_subrev_nc_u32_e32 v11, s10, v9
	v_cmp_le_u32_e32 vcc_lo, s10, v9
	v_dual_cndmask_b32 v9, v9, v11 :: v_dual_cndmask_b32 v8, v8, v10
	s_delay_alu instid0(VALU_DEP_1) | instskip(NEXT) | instid1(VALU_DEP_2)
	v_cmp_le_u32_e32 vcc_lo, s10, v9
	v_dual_mov_b32 v9, 0 :: v_dual_add_nc_u32 v10, 1, v8
	s_delay_alu instid0(VALU_DEP_1)
	v_cndmask_b32_e32 v8, v8, v10, vcc_lo
.LBB7_17:
	s_or_b32 exec_lo, exec_lo, s2
	s_delay_alu instid0(VALU_DEP_1) | instskip(NEXT) | instid1(VALU_DEP_2)
	v_mul_lo_u32 v14, s9, v8
	v_mul_lo_u32 v15, s10, v9
	v_mad_u64_u32 v[10:11], null, s10, v8, 0
	s_delay_alu instid0(VALU_DEP_1) | instskip(NEXT) | instid1(VALU_DEP_2)
	v_add3_u32 v11, v11, v15, v14
	v_sub_co_u32 v10, vcc_lo, v4, v10
	v_mov_b32_e32 v4, 0
	s_delay_alu instid0(VALU_DEP_3) | instskip(NEXT) | instid1(VALU_DEP_1)
	v_sub_co_ci_u32_e32 v11, vcc_lo, v5, v11, vcc_lo
	v_or_b32_e32 v5, s8, v11
	s_delay_alu instid0(VALU_DEP_1) | instskip(SKIP_1) | instid1(SALU_CYCLE_1)
	v_cmp_ne_u64_e32 vcc_lo, 0, v[4:5]
                                        ; implicit-def: $vgpr4_vgpr5
	s_and_saveexec_b32 s2, vcc_lo
	s_xor_b32 s9, exec_lo, s2
	s_cbranch_execz .LBB7_19
; %bb.18:
	s_ashr_i32 s4, s8, 31
	s_delay_alu instid0(SALU_CYCLE_1) | instskip(SKIP_2) | instid1(SALU_CYCLE_1)
	s_add_u32 s6, s3, s4
	s_mov_b32 s5, s4
	s_addc_u32 s7, s8, s4
	s_xor_b64 s[6:7], s[6:7], s[4:5]
	s_delay_alu instid0(SALU_CYCLE_1) | instskip(SKIP_3) | instid1(VALU_DEP_1)
	v_cvt_f32_u32_e32 v4, s6
	v_cvt_f32_u32_e32 v5, s7
	s_sub_u32 s2, 0, s6
	s_subb_u32 s5, 0, s7
	v_fmamk_f32 v4, v5, 0x4f800000, v4
	s_delay_alu instid0(VALU_DEP_1) | instskip(SKIP_2) | instid1(VALU_DEP_1)
	v_rcp_f32_e32 v4, v4
	s_waitcnt_depctr 0xfff
	v_mul_f32_e32 v4, 0x5f7ffffc, v4
	v_mul_f32_e32 v5, 0x2f800000, v4
	s_delay_alu instid0(VALU_DEP_1) | instskip(NEXT) | instid1(VALU_DEP_1)
	v_trunc_f32_e32 v5, v5
	v_fmamk_f32 v4, v5, 0xcf800000, v4
	v_cvt_u32_f32_e32 v5, v5
	s_delay_alu instid0(VALU_DEP_2) | instskip(NEXT) | instid1(VALU_DEP_2)
	v_cvt_u32_f32_e32 v4, v4
	v_mul_lo_u32 v14, s2, v5
	s_delay_alu instid0(VALU_DEP_2) | instskip(SKIP_1) | instid1(VALU_DEP_2)
	v_mul_hi_u32 v15, s2, v4
	v_mul_lo_u32 v16, s5, v4
	v_add_nc_u32_e32 v14, v15, v14
	v_mul_lo_u32 v15, s2, v4
	s_delay_alu instid0(VALU_DEP_2) | instskip(NEXT) | instid1(VALU_DEP_2)
	v_add_nc_u32_e32 v14, v14, v16
	v_mul_hi_u32 v16, v4, v15
	s_delay_alu instid0(VALU_DEP_2)
	v_mul_lo_u32 v17, v4, v14
	v_mul_hi_u32 v18, v4, v14
	v_mul_hi_u32 v19, v5, v15
	v_mul_lo_u32 v15, v5, v15
	v_mul_hi_u32 v20, v5, v14
	v_mul_lo_u32 v14, v5, v14
	v_add_co_u32 v16, vcc_lo, v16, v17
	v_add_co_ci_u32_e32 v17, vcc_lo, 0, v18, vcc_lo
	s_delay_alu instid0(VALU_DEP_2) | instskip(NEXT) | instid1(VALU_DEP_2)
	v_add_co_u32 v15, vcc_lo, v16, v15
	v_add_co_ci_u32_e32 v15, vcc_lo, v17, v19, vcc_lo
	v_add_co_ci_u32_e32 v16, vcc_lo, 0, v20, vcc_lo
	v_ashrrev_i32_e32 v19, 31, v11
	s_delay_alu instid0(VALU_DEP_3) | instskip(NEXT) | instid1(VALU_DEP_3)
	v_add_co_u32 v14, vcc_lo, v15, v14
	v_add_co_ci_u32_e32 v15, vcc_lo, 0, v16, vcc_lo
	s_delay_alu instid0(VALU_DEP_2) | instskip(NEXT) | instid1(VALU_DEP_2)
	v_add_co_u32 v4, vcc_lo, v4, v14
	v_add_co_ci_u32_e32 v5, vcc_lo, v5, v15, vcc_lo
	s_delay_alu instid0(VALU_DEP_2) | instskip(SKIP_1) | instid1(VALU_DEP_3)
	v_mul_hi_u32 v14, s2, v4
	v_mul_lo_u32 v16, s5, v4
	v_mul_lo_u32 v15, s2, v5
	s_delay_alu instid0(VALU_DEP_1) | instskip(SKIP_1) | instid1(VALU_DEP_2)
	v_add_nc_u32_e32 v14, v14, v15
	v_mul_lo_u32 v15, s2, v4
	v_add_nc_u32_e32 v14, v14, v16
	s_delay_alu instid0(VALU_DEP_2) | instskip(NEXT) | instid1(VALU_DEP_2)
	v_mul_hi_u32 v16, v4, v15
	v_mul_lo_u32 v17, v4, v14
	v_mul_hi_u32 v18, v4, v14
	v_mul_hi_u32 v20, v5, v15
	v_mul_lo_u32 v15, v5, v15
	v_mul_hi_u32 v21, v5, v14
	v_mul_lo_u32 v14, v5, v14
	v_add_co_u32 v16, vcc_lo, v16, v17
	v_add_co_ci_u32_e32 v17, vcc_lo, 0, v18, vcc_lo
	s_delay_alu instid0(VALU_DEP_2) | instskip(NEXT) | instid1(VALU_DEP_2)
	v_add_co_u32 v15, vcc_lo, v16, v15
	v_add_co_ci_u32_e32 v15, vcc_lo, v17, v20, vcc_lo
	v_add_co_ci_u32_e32 v16, vcc_lo, 0, v21, vcc_lo
	v_add_co_u32 v17, vcc_lo, v10, v19
	v_add_co_ci_u32_e32 v18, vcc_lo, v11, v19, vcc_lo
	s_delay_alu instid0(VALU_DEP_4) | instskip(NEXT) | instid1(VALU_DEP_4)
	v_add_co_u32 v14, vcc_lo, v15, v14
	v_add_co_ci_u32_e32 v15, vcc_lo, 0, v16, vcc_lo
	s_delay_alu instid0(VALU_DEP_4) | instskip(NEXT) | instid1(VALU_DEP_3)
	v_xor_b32_e32 v20, v17, v19
	v_add_co_u32 v16, vcc_lo, v4, v14
	s_delay_alu instid0(VALU_DEP_3) | instskip(SKIP_1) | instid1(VALU_DEP_3)
	v_add_co_ci_u32_e32 v21, vcc_lo, v5, v15, vcc_lo
	v_xor_b32_e32 v18, v18, v19
	v_mul_hi_u32 v22, v20, v16
	s_delay_alu instid0(VALU_DEP_3) | instskip(NEXT) | instid1(VALU_DEP_3)
	v_mad_u64_u32 v[4:5], null, v20, v21, 0
	v_mad_u64_u32 v[14:15], null, v18, v16, 0
	;; [unrolled: 1-line block ×3, first 2 shown]
	s_delay_alu instid0(VALU_DEP_3) | instskip(NEXT) | instid1(VALU_DEP_4)
	v_add_co_u32 v4, vcc_lo, v22, v4
	v_add_co_ci_u32_e32 v5, vcc_lo, 0, v5, vcc_lo
	s_delay_alu instid0(VALU_DEP_2) | instskip(NEXT) | instid1(VALU_DEP_2)
	v_add_co_u32 v4, vcc_lo, v4, v14
	v_add_co_ci_u32_e32 v4, vcc_lo, v5, v15, vcc_lo
	v_add_co_ci_u32_e32 v5, vcc_lo, 0, v17, vcc_lo
	s_delay_alu instid0(VALU_DEP_2) | instskip(NEXT) | instid1(VALU_DEP_2)
	v_add_co_u32 v14, vcc_lo, v4, v16
	v_add_co_ci_u32_e32 v15, vcc_lo, 0, v5, vcc_lo
	s_delay_alu instid0(VALU_DEP_2) | instskip(SKIP_1) | instid1(VALU_DEP_3)
	v_mul_lo_u32 v16, s7, v14
	v_mad_u64_u32 v[4:5], null, s6, v14, 0
	v_mul_lo_u32 v17, s6, v15
	s_delay_alu instid0(VALU_DEP_2) | instskip(NEXT) | instid1(VALU_DEP_2)
	v_sub_co_u32 v4, vcc_lo, v20, v4
	v_add3_u32 v5, v5, v17, v16
	s_delay_alu instid0(VALU_DEP_1) | instskip(NEXT) | instid1(VALU_DEP_1)
	v_sub_nc_u32_e32 v16, v18, v5
	v_subrev_co_ci_u32_e64 v16, s2, s7, v16, vcc_lo
	v_add_co_u32 v17, s2, v14, 2
	s_delay_alu instid0(VALU_DEP_1) | instskip(SKIP_3) | instid1(VALU_DEP_3)
	v_add_co_ci_u32_e64 v20, s2, 0, v15, s2
	v_sub_co_u32 v21, s2, v4, s6
	v_sub_co_ci_u32_e32 v5, vcc_lo, v18, v5, vcc_lo
	v_subrev_co_ci_u32_e64 v16, s2, 0, v16, s2
	v_cmp_le_u32_e32 vcc_lo, s6, v21
	s_delay_alu instid0(VALU_DEP_3) | instskip(SKIP_1) | instid1(VALU_DEP_4)
	v_cmp_eq_u32_e64 s2, s7, v5
	v_cndmask_b32_e64 v18, 0, -1, vcc_lo
	v_cmp_le_u32_e32 vcc_lo, s7, v16
	v_cndmask_b32_e64 v21, 0, -1, vcc_lo
	v_cmp_le_u32_e32 vcc_lo, s6, v4
	;; [unrolled: 2-line block ×3, first 2 shown]
	v_cndmask_b32_e64 v22, 0, -1, vcc_lo
	v_cmp_eq_u32_e32 vcc_lo, s7, v16
	s_delay_alu instid0(VALU_DEP_2) | instskip(SKIP_3) | instid1(VALU_DEP_3)
	v_cndmask_b32_e64 v4, v22, v4, s2
	v_cndmask_b32_e32 v16, v21, v18, vcc_lo
	v_add_co_u32 v18, vcc_lo, v14, 1
	v_add_co_ci_u32_e32 v21, vcc_lo, 0, v15, vcc_lo
	v_cmp_ne_u32_e32 vcc_lo, 0, v16
	s_delay_alu instid0(VALU_DEP_2) | instskip(SKIP_2) | instid1(VALU_DEP_3)
	v_dual_cndmask_b32 v5, v21, v20 :: v_dual_cndmask_b32 v16, v18, v17
	v_cmp_ne_u32_e32 vcc_lo, 0, v4
	v_xor_b32_e32 v17, s4, v19
	v_dual_cndmask_b32 v4, v15, v5 :: v_dual_cndmask_b32 v5, v14, v16
	s_delay_alu instid0(VALU_DEP_1) | instskip(NEXT) | instid1(VALU_DEP_2)
	v_xor_b32_e32 v14, v4, v17
	v_xor_b32_e32 v5, v5, v17
	s_delay_alu instid0(VALU_DEP_1) | instskip(NEXT) | instid1(VALU_DEP_3)
	v_sub_co_u32 v4, vcc_lo, v5, v17
	v_sub_co_ci_u32_e32 v5, vcc_lo, v14, v17, vcc_lo
.LBB7_19:
	s_and_not1_saveexec_b32 s2, s9
	s_cbranch_execz .LBB7_21
; %bb.20:
	v_cvt_f32_u32_e32 v4, s3
	s_sub_i32 s4, 0, s3
	s_delay_alu instid0(VALU_DEP_1) | instskip(SKIP_2) | instid1(VALU_DEP_1)
	v_rcp_iflag_f32_e32 v4, v4
	s_waitcnt_depctr 0xfff
	v_mul_f32_e32 v4, 0x4f7ffffe, v4
	v_cvt_u32_f32_e32 v4, v4
	s_delay_alu instid0(VALU_DEP_1) | instskip(NEXT) | instid1(VALU_DEP_1)
	v_mul_lo_u32 v5, s4, v4
	v_mul_hi_u32 v5, v4, v5
	s_delay_alu instid0(VALU_DEP_1) | instskip(NEXT) | instid1(VALU_DEP_1)
	v_add_nc_u32_e32 v4, v4, v5
	v_mul_hi_u32 v4, v10, v4
	s_delay_alu instid0(VALU_DEP_1) | instskip(SKIP_1) | instid1(VALU_DEP_2)
	v_mul_lo_u32 v5, v4, s3
	v_add_nc_u32_e32 v14, 1, v4
	v_sub_nc_u32_e32 v5, v10, v5
	s_delay_alu instid0(VALU_DEP_1) | instskip(SKIP_1) | instid1(VALU_DEP_2)
	v_subrev_nc_u32_e32 v15, s3, v5
	v_cmp_le_u32_e32 vcc_lo, s3, v5
	v_dual_cndmask_b32 v5, v5, v15 :: v_dual_cndmask_b32 v4, v4, v14
	s_delay_alu instid0(VALU_DEP_1) | instskip(NEXT) | instid1(VALU_DEP_2)
	v_cmp_le_u32_e32 vcc_lo, s3, v5
	v_dual_mov_b32 v5, 0 :: v_dual_add_nc_u32 v14, 1, v4
	s_delay_alu instid0(VALU_DEP_1)
	v_cndmask_b32_e32 v4, v4, v14, vcc_lo
.LBB7_21:
	s_or_b32 exec_lo, exec_lo, s2
	s_delay_alu instid0(VALU_DEP_1) | instskip(NEXT) | instid1(VALU_DEP_2)
	v_mul_lo_u32 v16, s8, v4
	v_mul_lo_u32 v17, s3, v5
	v_mad_u64_u32 v[14:15], null, s3, v4, 0
	s_delay_alu instid0(VALU_DEP_1) | instskip(NEXT) | instid1(VALU_DEP_2)
	v_add3_u32 v15, v15, v17, v16
	v_sub_co_u32 v14, vcc_lo, v10, v14
	v_mov_b32_e32 v10, 0
	s_delay_alu instid0(VALU_DEP_3) | instskip(NEXT) | instid1(VALU_DEP_1)
	v_sub_co_ci_u32_e32 v15, vcc_lo, v11, v15, vcc_lo
	v_or_b32_e32 v11, s41, v15
	s_delay_alu instid0(VALU_DEP_1) | instskip(SKIP_1) | instid1(SALU_CYCLE_1)
	v_cmp_ne_u64_e32 vcc_lo, 0, v[10:11]
                                        ; implicit-def: $vgpr10_vgpr11
	s_and_saveexec_b32 s2, vcc_lo
	s_xor_b32 s3, exec_lo, s2
	s_cbranch_execz .LBB7_23
; %bb.22:
	s_ashr_i32 s4, s41, 31
	s_delay_alu instid0(SALU_CYCLE_1) | instskip(SKIP_2) | instid1(SALU_CYCLE_1)
	s_add_u32 s6, s40, s4
	s_mov_b32 s5, s4
	s_addc_u32 s7, s41, s4
	s_xor_b64 s[6:7], s[6:7], s[4:5]
	s_delay_alu instid0(SALU_CYCLE_1) | instskip(SKIP_3) | instid1(VALU_DEP_1)
	v_cvt_f32_u32_e32 v10, s6
	v_cvt_f32_u32_e32 v11, s7
	s_sub_u32 s2, 0, s6
	s_subb_u32 s5, 0, s7
	v_fmamk_f32 v10, v11, 0x4f800000, v10
	s_delay_alu instid0(VALU_DEP_1) | instskip(SKIP_2) | instid1(VALU_DEP_1)
	v_rcp_f32_e32 v10, v10
	s_waitcnt_depctr 0xfff
	v_mul_f32_e32 v10, 0x5f7ffffc, v10
	v_mul_f32_e32 v11, 0x2f800000, v10
	s_delay_alu instid0(VALU_DEP_1) | instskip(NEXT) | instid1(VALU_DEP_1)
	v_trunc_f32_e32 v11, v11
	v_fmamk_f32 v10, v11, 0xcf800000, v10
	v_cvt_u32_f32_e32 v11, v11
	s_delay_alu instid0(VALU_DEP_2) | instskip(NEXT) | instid1(VALU_DEP_2)
	v_cvt_u32_f32_e32 v10, v10
	v_mul_lo_u32 v16, s2, v11
	s_delay_alu instid0(VALU_DEP_2) | instskip(SKIP_1) | instid1(VALU_DEP_2)
	v_mul_hi_u32 v17, s2, v10
	v_mul_lo_u32 v18, s5, v10
	v_add_nc_u32_e32 v16, v17, v16
	v_mul_lo_u32 v17, s2, v10
	s_delay_alu instid0(VALU_DEP_2) | instskip(NEXT) | instid1(VALU_DEP_2)
	v_add_nc_u32_e32 v16, v16, v18
	v_mul_hi_u32 v18, v10, v17
	s_delay_alu instid0(VALU_DEP_2)
	v_mul_lo_u32 v19, v10, v16
	v_mul_hi_u32 v20, v10, v16
	v_mul_hi_u32 v21, v11, v17
	v_mul_lo_u32 v17, v11, v17
	v_mul_hi_u32 v22, v11, v16
	v_mul_lo_u32 v16, v11, v16
	v_add_co_u32 v18, vcc_lo, v18, v19
	v_add_co_ci_u32_e32 v19, vcc_lo, 0, v20, vcc_lo
	s_delay_alu instid0(VALU_DEP_2) | instskip(NEXT) | instid1(VALU_DEP_2)
	v_add_co_u32 v17, vcc_lo, v18, v17
	v_add_co_ci_u32_e32 v17, vcc_lo, v19, v21, vcc_lo
	v_add_co_ci_u32_e32 v18, vcc_lo, 0, v22, vcc_lo
	v_ashrrev_i32_e32 v21, 31, v15
	s_delay_alu instid0(VALU_DEP_3) | instskip(NEXT) | instid1(VALU_DEP_3)
	v_add_co_u32 v16, vcc_lo, v17, v16
	v_add_co_ci_u32_e32 v17, vcc_lo, 0, v18, vcc_lo
	s_delay_alu instid0(VALU_DEP_2) | instskip(NEXT) | instid1(VALU_DEP_2)
	v_add_co_u32 v10, vcc_lo, v10, v16
	v_add_co_ci_u32_e32 v11, vcc_lo, v11, v17, vcc_lo
	s_delay_alu instid0(VALU_DEP_2) | instskip(SKIP_1) | instid1(VALU_DEP_3)
	v_mul_hi_u32 v16, s2, v10
	v_mul_lo_u32 v18, s5, v10
	v_mul_lo_u32 v17, s2, v11
	s_delay_alu instid0(VALU_DEP_1) | instskip(SKIP_1) | instid1(VALU_DEP_2)
	v_add_nc_u32_e32 v16, v16, v17
	v_mul_lo_u32 v17, s2, v10
	v_add_nc_u32_e32 v16, v16, v18
	s_delay_alu instid0(VALU_DEP_2) | instskip(NEXT) | instid1(VALU_DEP_2)
	v_mul_hi_u32 v18, v10, v17
	v_mul_lo_u32 v19, v10, v16
	v_mul_hi_u32 v20, v10, v16
	v_mul_hi_u32 v22, v11, v17
	v_mul_lo_u32 v17, v11, v17
	v_mul_hi_u32 v23, v11, v16
	v_mul_lo_u32 v16, v11, v16
	v_add_co_u32 v18, vcc_lo, v18, v19
	v_add_co_ci_u32_e32 v19, vcc_lo, 0, v20, vcc_lo
	s_delay_alu instid0(VALU_DEP_2) | instskip(NEXT) | instid1(VALU_DEP_2)
	v_add_co_u32 v17, vcc_lo, v18, v17
	v_add_co_ci_u32_e32 v17, vcc_lo, v19, v22, vcc_lo
	v_add_co_ci_u32_e32 v18, vcc_lo, 0, v23, vcc_lo
	v_add_co_u32 v19, vcc_lo, v14, v21
	v_add_co_ci_u32_e32 v20, vcc_lo, v15, v21, vcc_lo
	s_delay_alu instid0(VALU_DEP_4) | instskip(NEXT) | instid1(VALU_DEP_4)
	v_add_co_u32 v16, vcc_lo, v17, v16
	v_add_co_ci_u32_e32 v17, vcc_lo, 0, v18, vcc_lo
	s_delay_alu instid0(VALU_DEP_4) | instskip(NEXT) | instid1(VALU_DEP_3)
	v_xor_b32_e32 v22, v19, v21
	v_add_co_u32 v18, vcc_lo, v10, v16
	s_delay_alu instid0(VALU_DEP_3) | instskip(SKIP_1) | instid1(VALU_DEP_3)
	v_add_co_ci_u32_e32 v23, vcc_lo, v11, v17, vcc_lo
	v_xor_b32_e32 v20, v20, v21
	v_mul_hi_u32 v24, v22, v18
	s_delay_alu instid0(VALU_DEP_3) | instskip(NEXT) | instid1(VALU_DEP_3)
	v_mad_u64_u32 v[10:11], null, v22, v23, 0
	v_mad_u64_u32 v[16:17], null, v20, v18, 0
	;; [unrolled: 1-line block ×3, first 2 shown]
	s_delay_alu instid0(VALU_DEP_3) | instskip(NEXT) | instid1(VALU_DEP_4)
	v_add_co_u32 v10, vcc_lo, v24, v10
	v_add_co_ci_u32_e32 v11, vcc_lo, 0, v11, vcc_lo
	s_delay_alu instid0(VALU_DEP_2) | instskip(NEXT) | instid1(VALU_DEP_2)
	v_add_co_u32 v10, vcc_lo, v10, v16
	v_add_co_ci_u32_e32 v10, vcc_lo, v11, v17, vcc_lo
	v_add_co_ci_u32_e32 v11, vcc_lo, 0, v19, vcc_lo
	s_delay_alu instid0(VALU_DEP_2) | instskip(NEXT) | instid1(VALU_DEP_2)
	v_add_co_u32 v16, vcc_lo, v10, v18
	v_add_co_ci_u32_e32 v17, vcc_lo, 0, v11, vcc_lo
	s_delay_alu instid0(VALU_DEP_2) | instskip(SKIP_1) | instid1(VALU_DEP_3)
	v_mul_lo_u32 v18, s7, v16
	v_mad_u64_u32 v[10:11], null, s6, v16, 0
	v_mul_lo_u32 v19, s6, v17
	s_delay_alu instid0(VALU_DEP_2) | instskip(NEXT) | instid1(VALU_DEP_2)
	v_sub_co_u32 v10, vcc_lo, v22, v10
	v_add3_u32 v11, v11, v19, v18
	s_delay_alu instid0(VALU_DEP_1) | instskip(NEXT) | instid1(VALU_DEP_1)
	v_sub_nc_u32_e32 v18, v20, v11
	v_subrev_co_ci_u32_e64 v18, s2, s7, v18, vcc_lo
	v_add_co_u32 v19, s2, v16, 2
	s_delay_alu instid0(VALU_DEP_1) | instskip(SKIP_3) | instid1(VALU_DEP_3)
	v_add_co_ci_u32_e64 v22, s2, 0, v17, s2
	v_sub_co_u32 v23, s2, v10, s6
	v_sub_co_ci_u32_e32 v11, vcc_lo, v20, v11, vcc_lo
	v_subrev_co_ci_u32_e64 v18, s2, 0, v18, s2
	v_cmp_le_u32_e32 vcc_lo, s6, v23
	s_delay_alu instid0(VALU_DEP_3) | instskip(SKIP_1) | instid1(VALU_DEP_4)
	v_cmp_eq_u32_e64 s2, s7, v11
	v_cndmask_b32_e64 v20, 0, -1, vcc_lo
	v_cmp_le_u32_e32 vcc_lo, s7, v18
	v_cndmask_b32_e64 v23, 0, -1, vcc_lo
	v_cmp_le_u32_e32 vcc_lo, s6, v10
	;; [unrolled: 2-line block ×3, first 2 shown]
	v_cndmask_b32_e64 v24, 0, -1, vcc_lo
	v_cmp_eq_u32_e32 vcc_lo, s7, v18
	s_delay_alu instid0(VALU_DEP_2) | instskip(SKIP_3) | instid1(VALU_DEP_3)
	v_cndmask_b32_e64 v10, v24, v10, s2
	v_cndmask_b32_e32 v18, v23, v20, vcc_lo
	v_add_co_u32 v20, vcc_lo, v16, 1
	v_add_co_ci_u32_e32 v23, vcc_lo, 0, v17, vcc_lo
	v_cmp_ne_u32_e32 vcc_lo, 0, v18
	s_delay_alu instid0(VALU_DEP_2) | instskip(SKIP_2) | instid1(VALU_DEP_3)
	v_dual_cndmask_b32 v11, v23, v22 :: v_dual_cndmask_b32 v18, v20, v19
	v_cmp_ne_u32_e32 vcc_lo, 0, v10
	v_xor_b32_e32 v19, s4, v21
	v_dual_cndmask_b32 v10, v17, v11 :: v_dual_cndmask_b32 v11, v16, v18
	s_delay_alu instid0(VALU_DEP_1) | instskip(NEXT) | instid1(VALU_DEP_2)
	v_xor_b32_e32 v16, v10, v19
	v_xor_b32_e32 v11, v11, v19
	s_delay_alu instid0(VALU_DEP_1) | instskip(NEXT) | instid1(VALU_DEP_3)
	v_sub_co_u32 v10, vcc_lo, v11, v19
	v_sub_co_ci_u32_e32 v11, vcc_lo, v16, v19, vcc_lo
.LBB7_23:
	s_and_not1_saveexec_b32 s2, s3
	s_cbranch_execz .LBB7_25
; %bb.24:
	v_cvt_f32_u32_e32 v10, s40
	s_sub_i32 s3, 0, s40
	s_delay_alu instid0(VALU_DEP_1) | instskip(SKIP_2) | instid1(VALU_DEP_1)
	v_rcp_iflag_f32_e32 v10, v10
	s_waitcnt_depctr 0xfff
	v_mul_f32_e32 v10, 0x4f7ffffe, v10
	v_cvt_u32_f32_e32 v10, v10
	s_delay_alu instid0(VALU_DEP_1) | instskip(NEXT) | instid1(VALU_DEP_1)
	v_mul_lo_u32 v11, s3, v10
	v_mul_hi_u32 v11, v10, v11
	s_delay_alu instid0(VALU_DEP_1) | instskip(NEXT) | instid1(VALU_DEP_1)
	v_add_nc_u32_e32 v10, v10, v11
	v_mul_hi_u32 v10, v14, v10
	s_delay_alu instid0(VALU_DEP_1) | instskip(SKIP_1) | instid1(VALU_DEP_2)
	v_mul_lo_u32 v11, v10, s40
	v_add_nc_u32_e32 v16, 1, v10
	v_sub_nc_u32_e32 v11, v14, v11
	s_delay_alu instid0(VALU_DEP_1) | instskip(SKIP_1) | instid1(VALU_DEP_2)
	v_subrev_nc_u32_e32 v17, s40, v11
	v_cmp_le_u32_e32 vcc_lo, s40, v11
	v_dual_cndmask_b32 v11, v11, v17 :: v_dual_cndmask_b32 v10, v10, v16
	s_delay_alu instid0(VALU_DEP_1) | instskip(NEXT) | instid1(VALU_DEP_2)
	v_cmp_le_u32_e32 vcc_lo, s40, v11
	v_dual_mov_b32 v11, 0 :: v_dual_add_nc_u32 v16, 1, v10
	s_delay_alu instid0(VALU_DEP_1)
	v_cndmask_b32_e32 v10, v10, v16, vcc_lo
.LBB7_25:
	s_or_b32 exec_lo, exec_lo, s2
	v_mul_lo_u32 v18, v7, s22
	v_mul_lo_u32 v19, v6, s23
	v_mad_u64_u32 v[16:17], null, v6, s22, 0
	v_mul_lo_u32 v7, v7, s30
	v_mul_lo_u32 v3, v3, s36
	s_load_b64 s[0:1], s[0:1], 0x80
	s_delay_alu instid0(VALU_DEP_3) | instskip(NEXT) | instid1(VALU_DEP_4)
	v_add3_u32 v17, v17, v19, v18
	v_sub_co_u32 v12, vcc_lo, v12, v16
	s_delay_alu instid0(VALU_DEP_2) | instskip(NEXT) | instid1(VALU_DEP_1)
	v_sub_co_ci_u32_e32 v13, vcc_lo, v13, v17, vcc_lo
	v_ashrrev_i32_e32 v16, 31, v13
	s_delay_alu instid0(VALU_DEP_1) | instskip(NEXT) | instid1(VALU_DEP_1)
	v_lshrrev_b32_e32 v16, 27, v16
	v_add_co_u32 v12, vcc_lo, v12, v16
	v_add_co_ci_u32_e32 v13, vcc_lo, 0, v13, vcc_lo
	s_delay_alu instid0(VALU_DEP_1) | instskip(NEXT) | instid1(VALU_DEP_1)
	v_ashrrev_i64 v[12:13], 5, v[12:13]
	v_mul_lo_u32 v18, v12, s29
	s_delay_alu instid0(VALU_DEP_2) | instskip(SKIP_1) | instid1(VALU_DEP_1)
	v_mul_lo_u32 v13, v13, s28
	v_mad_u64_u32 v[16:17], null, v12, s28, s[16:17]
	v_add3_u32 v17, v13, v17, v18
	v_mul_lo_u32 v18, v6, s31
	s_delay_alu instid0(VALU_DEP_2) | instskip(SKIP_2) | instid1(VALU_DEP_3)
	v_mad_u64_u32 v[12:13], null, v6, s30, v[16:17]
	v_mul_lo_u32 v16, v2, s37
	v_mul_lo_u32 v17, v10, s41
	v_add3_u32 v13, v7, v13, v18
	s_delay_alu instid0(VALU_DEP_1) | instskip(SKIP_1) | instid1(VALU_DEP_2)
	v_mad_u64_u32 v[6:7], null, v2, s36, v[12:13]
	v_mul_lo_u32 v12, v1, s38
	v_add3_u32 v7, v3, v7, v16
	v_mul_lo_u32 v3, v0, s39
	s_delay_alu instid0(VALU_DEP_2) | instskip(SKIP_1) | instid1(VALU_DEP_2)
	v_mad_u64_u32 v[1:2], null, v0, s38, v[6:7]
	v_mad_u64_u32 v[6:7], null, v10, s40, 0
	v_add3_u32 v2, v12, v2, v3
	s_clause 0x3
	global_load_u8 v0, v[1:2], off offset:6
	global_load_u8 v3, v[1:2], off offset:2
	;; [unrolled: 1-line block ×3, first 2 shown]
	global_load_u16 v16, v[1:2], off
	v_mul_lo_u32 v12, v11, s40
	s_delay_alu instid0(VALU_DEP_1) | instskip(SKIP_1) | instid1(VALU_DEP_2)
	v_add3_u32 v7, v7, v17, v12
	v_sub_co_u32 v12, vcc_lo, v14, v6
	v_sub_co_ci_u32_e32 v14, vcc_lo, v15, v7, vcc_lo
	s_delay_alu instid0(VALU_DEP_2) | instskip(SKIP_1) | instid1(VALU_DEP_3)
	v_mul_lo_u32 v15, v12, s47
	v_mad_u64_u32 v[6:7], null, v12, s46, s[18:19]
	v_mul_lo_u32 v12, v14, s46
	v_mul_lo_u32 v14, v10, s49
	s_delay_alu instid0(VALU_DEP_2) | instskip(SKIP_1) | instid1(VALU_DEP_2)
	v_add3_u32 v7, v12, v7, v15
	v_mul_lo_u32 v15, v11, s48
	v_mad_u64_u32 v[11:12], null, v10, s48, v[6:7]
	v_mul_lo_u32 v7, v4, s51
	v_mul_lo_u32 v10, v5, s50
	s_delay_alu instid0(VALU_DEP_3) | instskip(NEXT) | instid1(VALU_DEP_1)
	v_add3_u32 v12, v15, v12, v14
	v_mad_u64_u32 v[5:6], null, v4, s50, v[11:12]
	s_delay_alu instid0(VALU_DEP_1)
	v_add3_u32 v6, v10, v6, v7
	s_waitcnt vmcnt(3)
	v_lshrrev_b16 v4, 4, v0
	s_waitcnt vmcnt(2)
	v_lshlrev_b32_e32 v3, 4, v3
	s_waitcnt vmcnt(1)
	v_lshlrev_b32_e32 v11, 4, v13
	v_or_b32_e32 v0, -16, v0
	v_or_b32_e32 v4, -16, v4
	v_and_b32_e32 v7, 16, v3
	s_delay_alu instid0(VALU_DEP_4) | instskip(NEXT) | instid1(VALU_DEP_3)
	v_and_b32_e32 v10, 16, v11
	v_bfe_i32 v11, v4, 0, 16
	s_delay_alu instid0(VALU_DEP_3)
	v_add_nc_u32_e32 v0, v0, v7
	s_waitcnt lgkmcnt(0)
	v_mad_u64_u32 v[3:4], null, v8, s0, v[5:6]
	v_mul_lo_u32 v5, v8, s1
	v_add_nc_u32_e32 v7, v10, v11
	v_mul_lo_u32 v6, v9, s0
	s_waitcnt vmcnt(0)
	v_cvt_f32_f16_e32 v8, v16
	v_cvt_f32_i32_e32 v0, v0
	v_cvt_f32_i32_e32 v7, v7
	s_delay_alu instid0(VALU_DEP_2) | instskip(SKIP_1) | instid1(VALU_DEP_3)
	v_mul_f32_e32 v0, v8, v0
	v_add3_u32 v4, v6, v4, v5
	v_mul_f32_e32 v5, v8, v7
	s_clause 0x1
	global_store_b32 v[3:4], v0, off
	global_store_b32 v[3:4], v5, off offset:64
	s_clause 0x3
	global_load_u8 v0, v[1:2], off offset:7
	global_load_u8 v5, v[1:2], off offset:2
	global_load_u8 v6, v[1:2], off offset:4
	global_load_u16 v7, v[1:2], off
	s_waitcnt vmcnt(3)
	v_lshrrev_b16 v8, 4, v0
	s_waitcnt vmcnt(2)
	v_lshlrev_b32_e32 v5, 3, v5
	s_waitcnt vmcnt(1)
	v_lshlrev_b32_e32 v6, 3, v6
	v_or_b32_e32 v0, -16, v0
	v_or_b32_e32 v8, -16, v8
	v_and_b32_e32 v5, 16, v5
	s_delay_alu instid0(VALU_DEP_4) | instskip(NEXT) | instid1(VALU_DEP_3)
	v_and_b32_e32 v6, 16, v6
	v_bfe_i32 v8, v8, 0, 16
	s_delay_alu instid0(VALU_DEP_3) | instskip(NEXT) | instid1(VALU_DEP_2)
	v_add_nc_u32_e32 v0, v0, v5
	v_add_nc_u32_e32 v5, v6, v8
	s_waitcnt vmcnt(0)
	v_cvt_f32_f16_e32 v6, v7
	s_delay_alu instid0(VALU_DEP_3) | instskip(NEXT) | instid1(VALU_DEP_3)
	v_cvt_f32_i32_e32 v0, v0
	v_cvt_f32_i32_e32 v5, v5
	s_delay_alu instid0(VALU_DEP_2) | instskip(NEXT) | instid1(VALU_DEP_2)
	v_mul_f32_e32 v0, v6, v0
	v_mul_f32_e32 v5, v6, v5
	s_clause 0x1
	global_store_b32 v[3:4], v0, off offset:4
	global_store_b32 v[3:4], v5, off offset:68
	s_clause 0x3
	global_load_u8 v0, v[1:2], off offset:8
	global_load_u8 v5, v[1:2], off offset:2
	global_load_u8 v6, v[1:2], off offset:4
	global_load_u16 v7, v[1:2], off
	s_waitcnt vmcnt(3)
	v_lshrrev_b16 v8, 4, v0
	s_waitcnt vmcnt(2)
	v_lshlrev_b32_e32 v5, 2, v5
	s_waitcnt vmcnt(1)
	v_lshlrev_b32_e32 v6, 2, v6
	v_or_b32_e32 v0, -16, v0
	v_or_b32_e32 v8, -16, v8
	v_and_b32_e32 v5, 16, v5
	s_delay_alu instid0(VALU_DEP_4) | instskip(NEXT) | instid1(VALU_DEP_3)
	v_and_b32_e32 v6, 16, v6
	v_bfe_i32 v8, v8, 0, 16
	s_delay_alu instid0(VALU_DEP_3) | instskip(NEXT) | instid1(VALU_DEP_2)
	v_add_nc_u32_e32 v0, v0, v5
	v_add_nc_u32_e32 v5, v6, v8
	s_waitcnt vmcnt(0)
	v_cvt_f32_f16_e32 v6, v7
	s_delay_alu instid0(VALU_DEP_3) | instskip(NEXT) | instid1(VALU_DEP_3)
	v_cvt_f32_i32_e32 v0, v0
	v_cvt_f32_i32_e32 v5, v5
	s_delay_alu instid0(VALU_DEP_2) | instskip(NEXT) | instid1(VALU_DEP_2)
	v_mul_f32_e32 v0, v6, v0
	v_mul_f32_e32 v5, v6, v5
	s_clause 0x1
	global_store_b32 v[3:4], v0, off offset:8
	;; [unrolled: 31-line block ×3, first 2 shown]
	global_store_b32 v[3:4], v5, off offset:76
	s_clause 0x3
	global_load_u8 v0, v[1:2], off offset:10
	global_load_u8 v5, v[1:2], off offset:2
	;; [unrolled: 1-line block ×3, first 2 shown]
	global_load_u16 v7, v[1:2], off
	s_waitcnt vmcnt(3)
	v_lshrrev_b16 v8, 4, v0
	s_waitcnt vmcnt(2)
	v_and_b32_e32 v5, 16, v5
	v_or_b32_e32 v0, -16, v0
	s_waitcnt vmcnt(1)
	v_and_b32_e32 v6, 16, v6
	v_or_b32_e32 v8, -16, v8
	s_delay_alu instid0(VALU_DEP_3) | instskip(NEXT) | instid1(VALU_DEP_2)
	v_add_nc_u32_e32 v0, v0, v5
	v_bfe_i32 v8, v8, 0, 16
	s_delay_alu instid0(VALU_DEP_2) | instskip(NEXT) | instid1(VALU_DEP_2)
	v_cvt_f32_i32_e32 v0, v0
	v_add_nc_u32_e32 v5, v8, v6
	s_waitcnt vmcnt(0)
	v_cvt_f32_f16_e32 v6, v7
	s_delay_alu instid0(VALU_DEP_2) | instskip(NEXT) | instid1(VALU_DEP_2)
	v_cvt_f32_i32_e32 v5, v5
	v_mul_f32_e32 v0, v6, v0
	s_delay_alu instid0(VALU_DEP_2)
	v_mul_f32_e32 v5, v6, v5
	s_clause 0x1
	global_store_b32 v[3:4], v0, off offset:16
	global_store_b32 v[3:4], v5, off offset:80
	s_clause 0x3
	global_load_u8 v0, v[1:2], off offset:11
	global_load_u8 v5, v[1:2], off offset:2
	global_load_u8 v6, v[1:2], off offset:4
	global_load_u16 v7, v[1:2], off
	s_waitcnt vmcnt(3)
	v_lshrrev_b16 v8, 4, v0
	s_waitcnt vmcnt(2)
	v_lshrrev_b32_e32 v5, 1, v5
	s_waitcnt vmcnt(1)
	v_lshrrev_b32_e32 v6, 1, v6
	v_or_b32_e32 v0, -16, v0
	v_or_b32_e32 v8, -16, v8
	v_and_b32_e32 v5, 16, v5
	s_delay_alu instid0(VALU_DEP_4) | instskip(NEXT) | instid1(VALU_DEP_3)
	v_and_b32_e32 v6, 16, v6
	v_bfe_i32 v8, v8, 0, 16
	s_delay_alu instid0(VALU_DEP_3) | instskip(NEXT) | instid1(VALU_DEP_2)
	v_add_nc_u32_e32 v0, v0, v5
	v_add_nc_u32_e32 v5, v8, v6
	s_waitcnt vmcnt(0)
	v_cvt_f32_f16_e32 v6, v7
	s_delay_alu instid0(VALU_DEP_3) | instskip(NEXT) | instid1(VALU_DEP_3)
	v_cvt_f32_i32_e32 v0, v0
	v_cvt_f32_i32_e32 v5, v5
	s_delay_alu instid0(VALU_DEP_2) | instskip(NEXT) | instid1(VALU_DEP_2)
	v_mul_f32_e32 v0, v6, v0
	v_mul_f32_e32 v5, v6, v5
	s_clause 0x1
	global_store_b32 v[3:4], v0, off offset:20
	global_store_b32 v[3:4], v5, off offset:84
	s_clause 0x3
	global_load_u8 v0, v[1:2], off offset:12
	global_load_u8 v5, v[1:2], off offset:2
	global_load_u8 v6, v[1:2], off offset:4
	global_load_u16 v7, v[1:2], off
	s_waitcnt vmcnt(3)
	v_lshrrev_b16 v8, 4, v0
	s_waitcnt vmcnt(2)
	v_lshrrev_b32_e32 v5, 2, v5
	s_waitcnt vmcnt(1)
	v_lshrrev_b32_e32 v6, 2, v6
	v_or_b32_e32 v0, -16, v0
	v_or_b32_e32 v8, -16, v8
	v_and_b32_e32 v5, 16, v5
	s_delay_alu instid0(VALU_DEP_4) | instskip(NEXT) | instid1(VALU_DEP_3)
	v_and_b32_e32 v6, 16, v6
	v_bfe_i32 v8, v8, 0, 16
	s_delay_alu instid0(VALU_DEP_3) | instskip(NEXT) | instid1(VALU_DEP_2)
	v_add_nc_u32_e32 v0, v0, v5
	v_add_nc_u32_e32 v5, v8, v6
	s_waitcnt vmcnt(0)
	v_cvt_f32_f16_e32 v6, v7
	s_delay_alu instid0(VALU_DEP_3) | instskip(NEXT) | instid1(VALU_DEP_3)
	v_cvt_f32_i32_e32 v0, v0
	v_cvt_f32_i32_e32 v5, v5
	s_delay_alu instid0(VALU_DEP_2) | instskip(NEXT) | instid1(VALU_DEP_2)
	v_mul_f32_e32 v0, v6, v0
	;; [unrolled: 31-line block ×3, first 2 shown]
	v_mul_f32_e32 v5, v6, v5
	s_clause 0x1
	global_store_b32 v[3:4], v0, off offset:28
	global_store_b32 v[3:4], v5, off offset:92
	s_clause 0x3
	global_load_u8 v0, v[1:2], off offset:14
	global_load_u8 v5, v[1:2], off offset:3
	global_load_u8 v6, v[1:2], off offset:5
	global_load_u16 v7, v[1:2], off
	s_waitcnt vmcnt(3)
	v_lshrrev_b16 v8, 4, v0
	s_waitcnt vmcnt(2)
	v_lshlrev_b32_e32 v5, 4, v5
	s_waitcnt vmcnt(1)
	v_lshlrev_b32_e32 v6, 4, v6
	v_or_b32_e32 v0, -16, v0
	v_or_b32_e32 v8, -16, v8
	v_and_b32_e32 v5, 16, v5
	s_delay_alu instid0(VALU_DEP_4) | instskip(NEXT) | instid1(VALU_DEP_3)
	v_and_b32_e32 v6, 16, v6
	v_bfe_i32 v8, v8, 0, 16
	s_delay_alu instid0(VALU_DEP_3) | instskip(NEXT) | instid1(VALU_DEP_2)
	v_add_nc_u32_e32 v0, v0, v5
	v_add_nc_u32_e32 v5, v6, v8
	s_waitcnt vmcnt(0)
	v_cvt_f32_f16_e32 v6, v7
	s_delay_alu instid0(VALU_DEP_3) | instskip(NEXT) | instid1(VALU_DEP_3)
	v_cvt_f32_i32_e32 v0, v0
	v_cvt_f32_i32_e32 v5, v5
	s_delay_alu instid0(VALU_DEP_2) | instskip(NEXT) | instid1(VALU_DEP_2)
	v_mul_f32_e32 v0, v6, v0
	v_mul_f32_e32 v5, v6, v5
	s_clause 0x1
	global_store_b32 v[3:4], v0, off offset:32
	global_store_b32 v[3:4], v5, off offset:96
	s_clause 0x3
	global_load_u8 v0, v[1:2], off offset:15
	global_load_u8 v5, v[1:2], off offset:3
	global_load_u8 v6, v[1:2], off offset:5
	global_load_u16 v7, v[1:2], off
	s_waitcnt vmcnt(3)
	v_lshrrev_b16 v8, 4, v0
	s_waitcnt vmcnt(2)
	v_lshlrev_b32_e32 v5, 3, v5
	s_waitcnt vmcnt(1)
	v_lshlrev_b32_e32 v6, 3, v6
	v_or_b32_e32 v0, -16, v0
	v_or_b32_e32 v8, -16, v8
	v_and_b32_e32 v5, 16, v5
	s_delay_alu instid0(VALU_DEP_4) | instskip(NEXT) | instid1(VALU_DEP_3)
	v_and_b32_e32 v6, 16, v6
	v_bfe_i32 v8, v8, 0, 16
	s_delay_alu instid0(VALU_DEP_3) | instskip(NEXT) | instid1(VALU_DEP_2)
	v_add_nc_u32_e32 v0, v0, v5
	v_add_nc_u32_e32 v5, v6, v8
	s_waitcnt vmcnt(0)
	v_cvt_f32_f16_e32 v6, v7
	s_delay_alu instid0(VALU_DEP_3) | instskip(NEXT) | instid1(VALU_DEP_3)
	v_cvt_f32_i32_e32 v0, v0
	v_cvt_f32_i32_e32 v5, v5
	s_delay_alu instid0(VALU_DEP_2) | instskip(NEXT) | instid1(VALU_DEP_2)
	v_mul_f32_e32 v0, v6, v0
	;; [unrolled: 31-line block ×4, first 2 shown]
	v_mul_f32_e32 v5, v6, v5
	s_clause 0x1
	global_store_b32 v[3:4], v0, off offset:44
	global_store_b32 v[3:4], v5, off offset:108
	s_clause 0x3
	global_load_u8 v0, v[1:2], off offset:18
	global_load_u8 v5, v[1:2], off offset:3
	;; [unrolled: 1-line block ×3, first 2 shown]
	global_load_u16 v7, v[1:2], off
	s_waitcnt vmcnt(3)
	v_lshrrev_b16 v8, 4, v0
	s_waitcnt vmcnt(2)
	v_and_b32_e32 v5, 16, v5
	s_waitcnt vmcnt(1)
	v_and_b32_e32 v6, 16, v6
	v_or_b32_e32 v0, -16, v0
	v_or_b32_e32 v8, -16, v8
	s_delay_alu instid0(VALU_DEP_2) | instskip(NEXT) | instid1(VALU_DEP_2)
	v_add_nc_u32_e32 v0, v0, v5
	v_bfe_i32 v8, v8, 0, 16
	s_delay_alu instid0(VALU_DEP_2) | instskip(NEXT) | instid1(VALU_DEP_2)
	v_cvt_f32_i32_e32 v0, v0
	v_add_nc_u32_e32 v5, v8, v6
	s_waitcnt vmcnt(0)
	v_cvt_f32_f16_e32 v6, v7
	s_delay_alu instid0(VALU_DEP_2) | instskip(NEXT) | instid1(VALU_DEP_2)
	v_cvt_f32_i32_e32 v5, v5
	v_mul_f32_e32 v0, v6, v0
	s_delay_alu instid0(VALU_DEP_2)
	v_mul_f32_e32 v5, v6, v5
	s_clause 0x1
	global_store_b32 v[3:4], v0, off offset:48
	global_store_b32 v[3:4], v5, off offset:112
	s_clause 0x3
	global_load_u8 v0, v[1:2], off offset:19
	global_load_u8 v5, v[1:2], off offset:3
	;; [unrolled: 1-line block ×3, first 2 shown]
	global_load_u16 v7, v[1:2], off
	s_waitcnt vmcnt(3)
	v_lshrrev_b16 v8, 4, v0
	s_waitcnt vmcnt(2)
	v_lshrrev_b32_e32 v5, 1, v5
	s_waitcnt vmcnt(1)
	v_lshrrev_b32_e32 v6, 1, v6
	v_or_b32_e32 v0, -16, v0
	v_or_b32_e32 v8, -16, v8
	v_and_b32_e32 v5, 16, v5
	s_delay_alu instid0(VALU_DEP_4) | instskip(NEXT) | instid1(VALU_DEP_3)
	v_and_b32_e32 v6, 16, v6
	v_bfe_i32 v8, v8, 0, 16
	s_delay_alu instid0(VALU_DEP_3) | instskip(NEXT) | instid1(VALU_DEP_2)
	v_add_nc_u32_e32 v0, v0, v5
	v_add_nc_u32_e32 v5, v8, v6
	s_waitcnt vmcnt(0)
	v_cvt_f32_f16_e32 v6, v7
	s_delay_alu instid0(VALU_DEP_3) | instskip(NEXT) | instid1(VALU_DEP_3)
	v_cvt_f32_i32_e32 v0, v0
	v_cvt_f32_i32_e32 v5, v5
	s_delay_alu instid0(VALU_DEP_2) | instskip(NEXT) | instid1(VALU_DEP_2)
	v_mul_f32_e32 v0, v6, v0
	v_mul_f32_e32 v5, v6, v5
	s_clause 0x1
	global_store_b32 v[3:4], v0, off offset:52
	global_store_b32 v[3:4], v5, off offset:116
	s_clause 0x3
	global_load_u8 v0, v[1:2], off offset:20
	global_load_u8 v5, v[1:2], off offset:3
	;; [unrolled: 1-line block ×3, first 2 shown]
	global_load_u16 v7, v[1:2], off
	s_waitcnt vmcnt(3)
	v_lshrrev_b16 v8, 4, v0
	s_waitcnt vmcnt(2)
	v_lshrrev_b32_e32 v5, 2, v5
	s_waitcnt vmcnt(1)
	v_lshrrev_b32_e32 v6, 2, v6
	v_or_b32_e32 v0, -16, v0
	v_or_b32_e32 v8, -16, v8
	v_and_b32_e32 v5, 16, v5
	s_delay_alu instid0(VALU_DEP_4) | instskip(NEXT) | instid1(VALU_DEP_3)
	v_and_b32_e32 v6, 16, v6
	v_bfe_i32 v8, v8, 0, 16
	s_delay_alu instid0(VALU_DEP_3) | instskip(NEXT) | instid1(VALU_DEP_2)
	v_add_nc_u32_e32 v0, v0, v5
	v_add_nc_u32_e32 v5, v8, v6
	s_waitcnt vmcnt(0)
	v_cvt_f32_f16_e32 v6, v7
	s_delay_alu instid0(VALU_DEP_3) | instskip(NEXT) | instid1(VALU_DEP_3)
	v_cvt_f32_i32_e32 v0, v0
	v_cvt_f32_i32_e32 v5, v5
	s_delay_alu instid0(VALU_DEP_2) | instskip(NEXT) | instid1(VALU_DEP_2)
	v_mul_f32_e32 v0, v6, v0
	v_mul_f32_e32 v5, v6, v5
	s_clause 0x1
	global_store_b32 v[3:4], v0, off offset:56
	global_store_b32 v[3:4], v5, off offset:120
	s_clause 0x3
	global_load_u8 v0, v[1:2], off offset:21
	global_load_u8 v5, v[1:2], off offset:3
	;; [unrolled: 1-line block ×3, first 2 shown]
	global_load_u16 v1, v[1:2], off
	s_waitcnt vmcnt(3)
	v_lshrrev_b16 v2, 4, v0
	s_waitcnt vmcnt(2)
	v_lshrrev_b32_e32 v5, 3, v5
	s_waitcnt vmcnt(1)
	v_lshrrev_b32_e32 v6, 3, v6
	v_or_b32_e32 v0, -16, v0
	s_waitcnt vmcnt(0)
	v_cvt_f32_f16_e32 v1, v1
	v_or_b32_e32 v2, -16, v2
	v_and_b32_e32 v5, 16, v5
	v_and_b32_e32 v6, 16, v6
	s_delay_alu instid0(VALU_DEP_3) | instskip(NEXT) | instid1(VALU_DEP_3)
	v_bfe_i32 v2, v2, 0, 16
	v_add_nc_u32_e32 v0, v0, v5
	s_delay_alu instid0(VALU_DEP_2) | instskip(NEXT) | instid1(VALU_DEP_2)
	v_add_nc_u32_e32 v2, v2, v6
	v_cvt_f32_i32_e32 v0, v0
	s_delay_alu instid0(VALU_DEP_2) | instskip(NEXT) | instid1(VALU_DEP_2)
	v_cvt_f32_i32_e32 v2, v2
	v_mul_f32_e32 v0, v1, v0
	s_delay_alu instid0(VALU_DEP_2)
	v_mul_f32_e32 v1, v1, v2
	s_clause 0x1
	global_store_b32 v[3:4], v0, off offset:60
	global_store_b32 v[3:4], v1, off offset:124
.LBB7_26:
	s_nop 0
	s_sendmsg sendmsg(MSG_DEALLOC_VGPRS)
	s_endpgm
	.section	.rodata,"a",@progbits
	.p2align	6, 0x0
	.amdhsa_kernel _ZL9cpy_q_f32IXadL_ZL14cpy_blck_q_f32IXadL_ZL15dequantize_q5_0PKvliR15HIP_vector_typeIfLj2EEEELi32EEvPKcPcEELi32EEvS7_S8_lllllllllllllll
		.amdhsa_group_segment_fixed_size 0
		.amdhsa_private_segment_fixed_size 0
		.amdhsa_kernarg_size 392
		.amdhsa_user_sgpr_count 15
		.amdhsa_user_sgpr_dispatch_ptr 0
		.amdhsa_user_sgpr_queue_ptr 0
		.amdhsa_user_sgpr_kernarg_segment_ptr 1
		.amdhsa_user_sgpr_dispatch_id 0
		.amdhsa_user_sgpr_private_segment_size 0
		.amdhsa_wavefront_size32 1
		.amdhsa_uses_dynamic_stack 0
		.amdhsa_enable_private_segment 0
		.amdhsa_system_sgpr_workgroup_id_x 1
		.amdhsa_system_sgpr_workgroup_id_y 0
		.amdhsa_system_sgpr_workgroup_id_z 0
		.amdhsa_system_sgpr_workgroup_info 0
		.amdhsa_system_vgpr_workitem_id 0
		.amdhsa_next_free_vgpr 25
		.amdhsa_next_free_sgpr 52
		.amdhsa_reserve_vcc 1
		.amdhsa_float_round_mode_32 0
		.amdhsa_float_round_mode_16_64 0
		.amdhsa_float_denorm_mode_32 3
		.amdhsa_float_denorm_mode_16_64 3
		.amdhsa_dx10_clamp 1
		.amdhsa_ieee_mode 1
		.amdhsa_fp16_overflow 0
		.amdhsa_workgroup_processor_mode 1
		.amdhsa_memory_ordered 1
		.amdhsa_forward_progress 0
		.amdhsa_shared_vgpr_count 0
		.amdhsa_exception_fp_ieee_invalid_op 0
		.amdhsa_exception_fp_denorm_src 0
		.amdhsa_exception_fp_ieee_div_zero 0
		.amdhsa_exception_fp_ieee_overflow 0
		.amdhsa_exception_fp_ieee_underflow 0
		.amdhsa_exception_fp_ieee_inexact 0
		.amdhsa_exception_int_div_zero 0
	.end_amdhsa_kernel
	.section	.text._ZL9cpy_q_f32IXadL_ZL14cpy_blck_q_f32IXadL_ZL15dequantize_q5_0PKvliR15HIP_vector_typeIfLj2EEEELi32EEvPKcPcEELi32EEvS7_S8_lllllllllllllll,"axG",@progbits,_ZL9cpy_q_f32IXadL_ZL14cpy_blck_q_f32IXadL_ZL15dequantize_q5_0PKvliR15HIP_vector_typeIfLj2EEEELi32EEvPKcPcEELi32EEvS7_S8_lllllllllllllll,comdat
.Lfunc_end7:
	.size	_ZL9cpy_q_f32IXadL_ZL14cpy_blck_q_f32IXadL_ZL15dequantize_q5_0PKvliR15HIP_vector_typeIfLj2EEEELi32EEvPKcPcEELi32EEvS7_S8_lllllllllllllll, .Lfunc_end7-_ZL9cpy_q_f32IXadL_ZL14cpy_blck_q_f32IXadL_ZL15dequantize_q5_0PKvliR15HIP_vector_typeIfLj2EEEELi32EEvPKcPcEELi32EEvS7_S8_lllllllllllllll
                                        ; -- End function
	.section	.AMDGPU.csdata,"",@progbits
; Kernel info:
; codeLenInByte = 9252
; NumSgprs: 54
; NumVgprs: 25
; ScratchSize: 0
; MemoryBound: 0
; FloatMode: 240
; IeeeMode: 1
; LDSByteSize: 0 bytes/workgroup (compile time only)
; SGPRBlocks: 6
; VGPRBlocks: 3
; NumSGPRsForWavesPerEU: 54
; NumVGPRsForWavesPerEU: 25
; Occupancy: 16
; WaveLimiterHint : 0
; COMPUTE_PGM_RSRC2:SCRATCH_EN: 0
; COMPUTE_PGM_RSRC2:USER_SGPR: 15
; COMPUTE_PGM_RSRC2:TRAP_HANDLER: 0
; COMPUTE_PGM_RSRC2:TGID_X_EN: 1
; COMPUTE_PGM_RSRC2:TGID_Y_EN: 0
; COMPUTE_PGM_RSRC2:TGID_Z_EN: 0
; COMPUTE_PGM_RSRC2:TIDIG_COMP_CNT: 0
	.section	.text._ZL9cpy_f32_qIXadL_ZL17cpy_blck_f32_q5_1PKcPcEELi32EEvS1_S2_lllllllllllllll,"axG",@progbits,_ZL9cpy_f32_qIXadL_ZL17cpy_blck_f32_q5_1PKcPcEELi32EEvS1_S2_lllllllllllllll,comdat
	.globl	_ZL9cpy_f32_qIXadL_ZL17cpy_blck_f32_q5_1PKcPcEELi32EEvS1_S2_lllllllllllllll ; -- Begin function _ZL9cpy_f32_qIXadL_ZL17cpy_blck_f32_q5_1PKcPcEELi32EEvS1_S2_lllllllllllllll
	.p2align	8
	.type	_ZL9cpy_f32_qIXadL_ZL17cpy_blck_f32_q5_1PKcPcEELi32EEvS1_S2_lllllllllllllll,@function
_ZL9cpy_f32_qIXadL_ZL17cpy_blck_f32_q5_1PKcPcEELi32EEvS1_S2_lllllllllllllll: ; @_ZL9cpy_f32_qIXadL_ZL17cpy_blck_f32_q5_1PKcPcEELi32EEvS1_S2_lllllllllllllll
; %bb.0:
	s_load_b32 s2, s[0:1], 0x94
	v_mov_b32_e32 v2, 0
	s_load_b512 s[16:31], s[0:1], 0x0
	s_delay_alu instid0(VALU_DEP_1)
	v_mov_b32_e32 v1, v2
	s_waitcnt lgkmcnt(0)
	s_and_b32 s2, s2, 0xffff
	s_delay_alu instid0(VALU_DEP_1) | instid1(SALU_CYCLE_1)
	v_mad_u64_u32 v[3:4], null, s2, s15, v[0:1]
	s_mov_b32 s2, exec_lo
	s_delay_alu instid0(VALU_DEP_1) | instskip(NEXT) | instid1(VALU_DEP_1)
	v_lshlrev_b64 v[6:7], 5, v[3:4]
	v_cmpx_gt_i64_e64 s[20:21], v[6:7]
	s_cbranch_execz .LBB8_28
; %bb.1:
	s_mul_i32 s2, s24, s23
	s_mul_hi_u32 s3, s24, s22
                                        ; implicit-def: $vgpr0_vgpr1
	s_delay_alu instid0(SALU_CYCLE_1)
	s_add_i32 s8, s3, s2
	s_mul_i32 s3, s24, s22
	s_mul_i32 s2, s25, s22
	;; [unrolled: 1-line block ×3, first 2 shown]
	s_mul_hi_u32 s5, s3, s26
	s_add_i32 s8, s8, s2
	s_add_i32 s2, s5, s4
	s_mul_i32 s4, s8, s26
	s_mul_i32 s10, s3, s26
	s_add_i32 s9, s2, s4
	s_mov_b32 s2, exec_lo
	v_or_b32_e32 v3, s9, v7
	s_delay_alu instid0(VALU_DEP_1)
	v_cmpx_ne_u64_e32 0, v[2:3]
	s_xor_b32 s11, exec_lo, s2
	s_cbranch_execz .LBB8_3
; %bb.2:
	s_ashr_i32 s4, s9, 31
	s_delay_alu instid0(SALU_CYCLE_1) | instskip(SKIP_2) | instid1(SALU_CYCLE_1)
	s_add_u32 s6, s10, s4
	s_mov_b32 s5, s4
	s_addc_u32 s7, s9, s4
	s_xor_b64 s[6:7], s[6:7], s[4:5]
	s_delay_alu instid0(SALU_CYCLE_1) | instskip(SKIP_3) | instid1(VALU_DEP_1)
	v_cvt_f32_u32_e32 v0, s6
	v_cvt_f32_u32_e32 v1, s7
	s_sub_u32 s2, 0, s6
	s_subb_u32 s5, 0, s7
	v_fmamk_f32 v0, v1, 0x4f800000, v0
	s_delay_alu instid0(VALU_DEP_1) | instskip(SKIP_2) | instid1(VALU_DEP_1)
	v_rcp_f32_e32 v0, v0
	s_waitcnt_depctr 0xfff
	v_mul_f32_e32 v0, 0x5f7ffffc, v0
	v_mul_f32_e32 v1, 0x2f800000, v0
	s_delay_alu instid0(VALU_DEP_1) | instskip(NEXT) | instid1(VALU_DEP_1)
	v_trunc_f32_e32 v1, v1
	v_fmamk_f32 v0, v1, 0xcf800000, v0
	v_cvt_u32_f32_e32 v1, v1
	s_delay_alu instid0(VALU_DEP_2) | instskip(NEXT) | instid1(VALU_DEP_2)
	v_cvt_u32_f32_e32 v0, v0
	v_mul_lo_u32 v2, s2, v1
	s_delay_alu instid0(VALU_DEP_2) | instskip(SKIP_1) | instid1(VALU_DEP_2)
	v_mul_hi_u32 v3, s2, v0
	v_mul_lo_u32 v4, s5, v0
	v_add_nc_u32_e32 v2, v3, v2
	v_mul_lo_u32 v3, s2, v0
	s_delay_alu instid0(VALU_DEP_2) | instskip(NEXT) | instid1(VALU_DEP_2)
	v_add_nc_u32_e32 v2, v2, v4
	v_mul_hi_u32 v4, v0, v3
	s_delay_alu instid0(VALU_DEP_2)
	v_mul_lo_u32 v5, v0, v2
	v_mul_hi_u32 v8, v0, v2
	v_mul_hi_u32 v9, v1, v3
	v_mul_lo_u32 v3, v1, v3
	v_mul_hi_u32 v10, v1, v2
	v_mul_lo_u32 v2, v1, v2
	v_add_co_u32 v4, vcc_lo, v4, v5
	v_add_co_ci_u32_e32 v5, vcc_lo, 0, v8, vcc_lo
	s_delay_alu instid0(VALU_DEP_2) | instskip(NEXT) | instid1(VALU_DEP_2)
	v_add_co_u32 v3, vcc_lo, v4, v3
	v_add_co_ci_u32_e32 v3, vcc_lo, v5, v9, vcc_lo
	v_add_co_ci_u32_e32 v4, vcc_lo, 0, v10, vcc_lo
	s_delay_alu instid0(VALU_DEP_2) | instskip(NEXT) | instid1(VALU_DEP_2)
	v_add_co_u32 v2, vcc_lo, v3, v2
	v_add_co_ci_u32_e32 v3, vcc_lo, 0, v4, vcc_lo
	s_delay_alu instid0(VALU_DEP_2) | instskip(NEXT) | instid1(VALU_DEP_2)
	v_add_co_u32 v0, vcc_lo, v0, v2
	v_add_co_ci_u32_e32 v1, vcc_lo, v1, v3, vcc_lo
	s_delay_alu instid0(VALU_DEP_2) | instskip(SKIP_1) | instid1(VALU_DEP_3)
	v_mul_hi_u32 v2, s2, v0
	v_mul_lo_u32 v4, s5, v0
	v_mul_lo_u32 v3, s2, v1
	s_delay_alu instid0(VALU_DEP_1) | instskip(SKIP_1) | instid1(VALU_DEP_2)
	v_add_nc_u32_e32 v2, v2, v3
	v_mul_lo_u32 v3, s2, v0
	v_add_nc_u32_e32 v2, v2, v4
	s_delay_alu instid0(VALU_DEP_2) | instskip(NEXT) | instid1(VALU_DEP_2)
	v_mul_hi_u32 v4, v0, v3
	v_mul_lo_u32 v5, v0, v2
	v_mul_hi_u32 v8, v0, v2
	v_mul_hi_u32 v9, v1, v3
	v_mul_lo_u32 v3, v1, v3
	v_mul_hi_u32 v10, v1, v2
	v_mul_lo_u32 v2, v1, v2
	v_add_co_u32 v4, vcc_lo, v4, v5
	v_add_co_ci_u32_e32 v5, vcc_lo, 0, v8, vcc_lo
	s_delay_alu instid0(VALU_DEP_2) | instskip(NEXT) | instid1(VALU_DEP_2)
	v_add_co_u32 v3, vcc_lo, v4, v3
	v_add_co_ci_u32_e32 v3, vcc_lo, v5, v9, vcc_lo
	v_add_co_ci_u32_e32 v4, vcc_lo, 0, v10, vcc_lo
	s_delay_alu instid0(VALU_DEP_2) | instskip(NEXT) | instid1(VALU_DEP_2)
	v_add_co_u32 v2, vcc_lo, v3, v2
	v_add_co_ci_u32_e32 v3, vcc_lo, 0, v4, vcc_lo
	s_delay_alu instid0(VALU_DEP_2) | instskip(NEXT) | instid1(VALU_DEP_2)
	v_add_co_u32 v4, vcc_lo, v0, v2
	v_add_co_ci_u32_e32 v8, vcc_lo, v1, v3, vcc_lo
	s_delay_alu instid0(VALU_DEP_2) | instskip(SKIP_1) | instid1(VALU_DEP_3)
	v_mul_hi_u32 v9, v6, v4
	v_mad_u64_u32 v[2:3], null, v7, v4, 0
	v_mad_u64_u32 v[0:1], null, v6, v8, 0
	;; [unrolled: 1-line block ×3, first 2 shown]
	s_delay_alu instid0(VALU_DEP_2) | instskip(NEXT) | instid1(VALU_DEP_3)
	v_add_co_u32 v0, vcc_lo, v9, v0
	v_add_co_ci_u32_e32 v1, vcc_lo, 0, v1, vcc_lo
	s_delay_alu instid0(VALU_DEP_2) | instskip(NEXT) | instid1(VALU_DEP_2)
	v_add_co_u32 v0, vcc_lo, v0, v2
	v_add_co_ci_u32_e32 v0, vcc_lo, v1, v3, vcc_lo
	v_add_co_ci_u32_e32 v1, vcc_lo, 0, v5, vcc_lo
	s_delay_alu instid0(VALU_DEP_2) | instskip(NEXT) | instid1(VALU_DEP_2)
	v_add_co_u32 v2, vcc_lo, v0, v4
	v_add_co_ci_u32_e32 v3, vcc_lo, 0, v1, vcc_lo
	s_delay_alu instid0(VALU_DEP_2) | instskip(SKIP_1) | instid1(VALU_DEP_3)
	v_mul_lo_u32 v4, s7, v2
	v_mad_u64_u32 v[0:1], null, s6, v2, 0
	v_mul_lo_u32 v5, s6, v3
	s_delay_alu instid0(VALU_DEP_2) | instskip(NEXT) | instid1(VALU_DEP_2)
	v_sub_co_u32 v0, vcc_lo, v6, v0
	v_add3_u32 v1, v1, v5, v4
	s_delay_alu instid0(VALU_DEP_1) | instskip(NEXT) | instid1(VALU_DEP_1)
	v_sub_nc_u32_e32 v4, v7, v1
	v_subrev_co_ci_u32_e64 v4, s2, s7, v4, vcc_lo
	v_add_co_u32 v5, s2, v2, 2
	s_delay_alu instid0(VALU_DEP_1) | instskip(SKIP_3) | instid1(VALU_DEP_3)
	v_add_co_ci_u32_e64 v8, s2, 0, v3, s2
	v_sub_co_u32 v9, s2, v0, s6
	v_sub_co_ci_u32_e32 v1, vcc_lo, v7, v1, vcc_lo
	v_subrev_co_ci_u32_e64 v4, s2, 0, v4, s2
	v_cmp_le_u32_e32 vcc_lo, s6, v9
	s_delay_alu instid0(VALU_DEP_3) | instskip(SKIP_1) | instid1(VALU_DEP_4)
	v_cmp_eq_u32_e64 s2, s7, v1
	v_cndmask_b32_e64 v9, 0, -1, vcc_lo
	v_cmp_le_u32_e32 vcc_lo, s7, v4
	v_cndmask_b32_e64 v10, 0, -1, vcc_lo
	v_cmp_le_u32_e32 vcc_lo, s6, v0
	;; [unrolled: 2-line block ×3, first 2 shown]
	v_cndmask_b32_e64 v11, 0, -1, vcc_lo
	v_cmp_eq_u32_e32 vcc_lo, s7, v4
	s_delay_alu instid0(VALU_DEP_2) | instskip(SKIP_3) | instid1(VALU_DEP_3)
	v_cndmask_b32_e64 v0, v11, v0, s2
	v_cndmask_b32_e32 v4, v10, v9, vcc_lo
	v_add_co_u32 v9, vcc_lo, v2, 1
	v_add_co_ci_u32_e32 v10, vcc_lo, 0, v3, vcc_lo
	v_cmp_ne_u32_e32 vcc_lo, 0, v4
	s_delay_alu instid0(VALU_DEP_2) | instskip(SKIP_1) | instid1(VALU_DEP_2)
	v_dual_cndmask_b32 v1, v10, v8 :: v_dual_cndmask_b32 v4, v9, v5
	v_cmp_ne_u32_e32 vcc_lo, 0, v0
	v_dual_cndmask_b32 v0, v3, v1 :: v_dual_cndmask_b32 v1, v2, v4
	s_delay_alu instid0(VALU_DEP_1) | instskip(NEXT) | instid1(VALU_DEP_2)
	v_xor_b32_e32 v2, s4, v0
	v_xor_b32_e32 v1, s4, v1
	s_delay_alu instid0(VALU_DEP_1) | instskip(NEXT) | instid1(VALU_DEP_3)
	v_sub_co_u32 v0, vcc_lo, v1, s4
	v_subrev_co_ci_u32_e32 v1, vcc_lo, s4, v2, vcc_lo
.LBB8_3:
	s_and_not1_saveexec_b32 s2, s11
	s_cbranch_execz .LBB8_5
; %bb.4:
	v_cvt_f32_u32_e32 v0, s10
	s_sub_i32 s4, 0, s10
	s_delay_alu instid0(VALU_DEP_1) | instskip(SKIP_2) | instid1(VALU_DEP_1)
	v_rcp_iflag_f32_e32 v0, v0
	s_waitcnt_depctr 0xfff
	v_mul_f32_e32 v0, 0x4f7ffffe, v0
	v_cvt_u32_f32_e32 v0, v0
	s_delay_alu instid0(VALU_DEP_1) | instskip(NEXT) | instid1(VALU_DEP_1)
	v_mul_lo_u32 v1, s4, v0
	v_mul_hi_u32 v1, v0, v1
	s_delay_alu instid0(VALU_DEP_1) | instskip(NEXT) | instid1(VALU_DEP_1)
	v_add_nc_u32_e32 v0, v0, v1
	v_mul_hi_u32 v0, v6, v0
	s_delay_alu instid0(VALU_DEP_1) | instskip(SKIP_1) | instid1(VALU_DEP_2)
	v_mul_lo_u32 v1, v0, s10
	v_add_nc_u32_e32 v2, 1, v0
	v_sub_nc_u32_e32 v1, v6, v1
	s_delay_alu instid0(VALU_DEP_1) | instskip(SKIP_1) | instid1(VALU_DEP_2)
	v_subrev_nc_u32_e32 v3, s10, v1
	v_cmp_le_u32_e32 vcc_lo, s10, v1
	v_dual_cndmask_b32 v1, v1, v3 :: v_dual_cndmask_b32 v0, v0, v2
	s_delay_alu instid0(VALU_DEP_1) | instskip(NEXT) | instid1(VALU_DEP_2)
	v_cmp_le_u32_e32 vcc_lo, s10, v1
	v_dual_mov_b32 v1, 0 :: v_dual_add_nc_u32 v2, 1, v0
	s_delay_alu instid0(VALU_DEP_1)
	v_cndmask_b32_e32 v0, v0, v2, vcc_lo
.LBB8_5:
	s_or_b32 exec_lo, exec_lo, s2
	s_delay_alu instid0(VALU_DEP_1) | instskip(NEXT) | instid1(VALU_DEP_2)
	v_mul_lo_u32 v4, s9, v0
	v_mul_lo_u32 v5, s10, v1
	v_mad_u64_u32 v[2:3], null, s10, v0, 0
	s_delay_alu instid0(VALU_DEP_1) | instskip(NEXT) | instid1(VALU_DEP_2)
	v_add3_u32 v3, v3, v5, v4
	v_sub_co_u32 v2, vcc_lo, v6, v2
	v_mov_b32_e32 v4, 0
	s_delay_alu instid0(VALU_DEP_3) | instskip(NEXT) | instid1(VALU_DEP_1)
	v_sub_co_ci_u32_e32 v3, vcc_lo, v7, v3, vcc_lo
	v_or_b32_e32 v5, s8, v3
	s_delay_alu instid0(VALU_DEP_1) | instskip(SKIP_1) | instid1(SALU_CYCLE_1)
	v_cmp_ne_u64_e32 vcc_lo, 0, v[4:5]
                                        ; implicit-def: $vgpr4_vgpr5
	s_and_saveexec_b32 s2, vcc_lo
	s_xor_b32 s9, exec_lo, s2
	s_cbranch_execz .LBB8_7
; %bb.6:
	s_ashr_i32 s4, s8, 31
	s_delay_alu instid0(SALU_CYCLE_1) | instskip(SKIP_2) | instid1(SALU_CYCLE_1)
	s_add_u32 s6, s3, s4
	s_mov_b32 s5, s4
	s_addc_u32 s7, s8, s4
	s_xor_b64 s[6:7], s[6:7], s[4:5]
	s_delay_alu instid0(SALU_CYCLE_1) | instskip(SKIP_3) | instid1(VALU_DEP_1)
	v_cvt_f32_u32_e32 v4, s6
	v_cvt_f32_u32_e32 v5, s7
	s_sub_u32 s2, 0, s6
	s_subb_u32 s5, 0, s7
	v_fmamk_f32 v4, v5, 0x4f800000, v4
	s_delay_alu instid0(VALU_DEP_1) | instskip(SKIP_2) | instid1(VALU_DEP_1)
	v_rcp_f32_e32 v4, v4
	s_waitcnt_depctr 0xfff
	v_mul_f32_e32 v4, 0x5f7ffffc, v4
	v_mul_f32_e32 v5, 0x2f800000, v4
	s_delay_alu instid0(VALU_DEP_1) | instskip(NEXT) | instid1(VALU_DEP_1)
	v_trunc_f32_e32 v5, v5
	v_fmamk_f32 v4, v5, 0xcf800000, v4
	v_cvt_u32_f32_e32 v5, v5
	s_delay_alu instid0(VALU_DEP_2) | instskip(NEXT) | instid1(VALU_DEP_2)
	v_cvt_u32_f32_e32 v4, v4
	v_mul_lo_u32 v8, s2, v5
	s_delay_alu instid0(VALU_DEP_2) | instskip(SKIP_1) | instid1(VALU_DEP_2)
	v_mul_hi_u32 v9, s2, v4
	v_mul_lo_u32 v10, s5, v4
	v_add_nc_u32_e32 v8, v9, v8
	v_mul_lo_u32 v9, s2, v4
	s_delay_alu instid0(VALU_DEP_2) | instskip(NEXT) | instid1(VALU_DEP_2)
	v_add_nc_u32_e32 v8, v8, v10
	v_mul_hi_u32 v10, v4, v9
	s_delay_alu instid0(VALU_DEP_2)
	v_mul_lo_u32 v11, v4, v8
	v_mul_hi_u32 v12, v4, v8
	v_mul_hi_u32 v13, v5, v9
	v_mul_lo_u32 v9, v5, v9
	v_mul_hi_u32 v14, v5, v8
	v_mul_lo_u32 v8, v5, v8
	v_add_co_u32 v10, vcc_lo, v10, v11
	v_add_co_ci_u32_e32 v11, vcc_lo, 0, v12, vcc_lo
	s_delay_alu instid0(VALU_DEP_2) | instskip(NEXT) | instid1(VALU_DEP_2)
	v_add_co_u32 v9, vcc_lo, v10, v9
	v_add_co_ci_u32_e32 v9, vcc_lo, v11, v13, vcc_lo
	v_add_co_ci_u32_e32 v10, vcc_lo, 0, v14, vcc_lo
	v_ashrrev_i32_e32 v13, 31, v3
	s_delay_alu instid0(VALU_DEP_3) | instskip(NEXT) | instid1(VALU_DEP_3)
	v_add_co_u32 v8, vcc_lo, v9, v8
	v_add_co_ci_u32_e32 v9, vcc_lo, 0, v10, vcc_lo
	s_delay_alu instid0(VALU_DEP_2) | instskip(NEXT) | instid1(VALU_DEP_2)
	v_add_co_u32 v4, vcc_lo, v4, v8
	v_add_co_ci_u32_e32 v5, vcc_lo, v5, v9, vcc_lo
	s_delay_alu instid0(VALU_DEP_2) | instskip(SKIP_1) | instid1(VALU_DEP_3)
	v_mul_hi_u32 v8, s2, v4
	v_mul_lo_u32 v10, s5, v4
	v_mul_lo_u32 v9, s2, v5
	s_delay_alu instid0(VALU_DEP_1) | instskip(SKIP_1) | instid1(VALU_DEP_2)
	v_add_nc_u32_e32 v8, v8, v9
	v_mul_lo_u32 v9, s2, v4
	v_add_nc_u32_e32 v8, v8, v10
	s_delay_alu instid0(VALU_DEP_2) | instskip(NEXT) | instid1(VALU_DEP_2)
	v_mul_hi_u32 v10, v4, v9
	v_mul_lo_u32 v11, v4, v8
	v_mul_hi_u32 v12, v4, v8
	v_mul_hi_u32 v14, v5, v9
	v_mul_lo_u32 v9, v5, v9
	v_mul_hi_u32 v15, v5, v8
	v_mul_lo_u32 v8, v5, v8
	v_add_co_u32 v10, vcc_lo, v10, v11
	v_add_co_ci_u32_e32 v11, vcc_lo, 0, v12, vcc_lo
	s_delay_alu instid0(VALU_DEP_2) | instskip(NEXT) | instid1(VALU_DEP_2)
	v_add_co_u32 v9, vcc_lo, v10, v9
	v_add_co_ci_u32_e32 v9, vcc_lo, v11, v14, vcc_lo
	v_add_co_ci_u32_e32 v10, vcc_lo, 0, v15, vcc_lo
	v_add_co_u32 v11, vcc_lo, v2, v13
	v_add_co_ci_u32_e32 v12, vcc_lo, v3, v13, vcc_lo
	s_delay_alu instid0(VALU_DEP_4) | instskip(NEXT) | instid1(VALU_DEP_4)
	v_add_co_u32 v8, vcc_lo, v9, v8
	v_add_co_ci_u32_e32 v9, vcc_lo, 0, v10, vcc_lo
	s_delay_alu instid0(VALU_DEP_4) | instskip(NEXT) | instid1(VALU_DEP_3)
	v_xor_b32_e32 v14, v11, v13
	v_add_co_u32 v10, vcc_lo, v4, v8
	s_delay_alu instid0(VALU_DEP_3) | instskip(SKIP_1) | instid1(VALU_DEP_3)
	v_add_co_ci_u32_e32 v15, vcc_lo, v5, v9, vcc_lo
	v_xor_b32_e32 v12, v12, v13
	v_mul_hi_u32 v16, v14, v10
	s_delay_alu instid0(VALU_DEP_3) | instskip(NEXT) | instid1(VALU_DEP_3)
	v_mad_u64_u32 v[4:5], null, v14, v15, 0
	v_mad_u64_u32 v[8:9], null, v12, v10, 0
	;; [unrolled: 1-line block ×3, first 2 shown]
	s_delay_alu instid0(VALU_DEP_3) | instskip(NEXT) | instid1(VALU_DEP_4)
	v_add_co_u32 v4, vcc_lo, v16, v4
	v_add_co_ci_u32_e32 v5, vcc_lo, 0, v5, vcc_lo
	s_delay_alu instid0(VALU_DEP_2) | instskip(NEXT) | instid1(VALU_DEP_2)
	v_add_co_u32 v4, vcc_lo, v4, v8
	v_add_co_ci_u32_e32 v4, vcc_lo, v5, v9, vcc_lo
	v_add_co_ci_u32_e32 v5, vcc_lo, 0, v11, vcc_lo
	s_delay_alu instid0(VALU_DEP_2) | instskip(NEXT) | instid1(VALU_DEP_2)
	v_add_co_u32 v8, vcc_lo, v4, v10
	v_add_co_ci_u32_e32 v9, vcc_lo, 0, v5, vcc_lo
	s_delay_alu instid0(VALU_DEP_2) | instskip(SKIP_1) | instid1(VALU_DEP_3)
	v_mul_lo_u32 v10, s7, v8
	v_mad_u64_u32 v[4:5], null, s6, v8, 0
	v_mul_lo_u32 v11, s6, v9
	s_delay_alu instid0(VALU_DEP_2) | instskip(NEXT) | instid1(VALU_DEP_2)
	v_sub_co_u32 v4, vcc_lo, v14, v4
	v_add3_u32 v5, v5, v11, v10
	s_delay_alu instid0(VALU_DEP_1) | instskip(NEXT) | instid1(VALU_DEP_1)
	v_sub_nc_u32_e32 v10, v12, v5
	v_subrev_co_ci_u32_e64 v10, s2, s7, v10, vcc_lo
	v_add_co_u32 v11, s2, v8, 2
	s_delay_alu instid0(VALU_DEP_1) | instskip(SKIP_3) | instid1(VALU_DEP_3)
	v_add_co_ci_u32_e64 v14, s2, 0, v9, s2
	v_sub_co_u32 v15, s2, v4, s6
	v_sub_co_ci_u32_e32 v5, vcc_lo, v12, v5, vcc_lo
	v_subrev_co_ci_u32_e64 v10, s2, 0, v10, s2
	v_cmp_le_u32_e32 vcc_lo, s6, v15
	s_delay_alu instid0(VALU_DEP_3) | instskip(SKIP_1) | instid1(VALU_DEP_4)
	v_cmp_eq_u32_e64 s2, s7, v5
	v_cndmask_b32_e64 v12, 0, -1, vcc_lo
	v_cmp_le_u32_e32 vcc_lo, s7, v10
	v_cndmask_b32_e64 v15, 0, -1, vcc_lo
	v_cmp_le_u32_e32 vcc_lo, s6, v4
	;; [unrolled: 2-line block ×3, first 2 shown]
	v_cndmask_b32_e64 v16, 0, -1, vcc_lo
	v_cmp_eq_u32_e32 vcc_lo, s7, v10
	s_delay_alu instid0(VALU_DEP_2) | instskip(SKIP_3) | instid1(VALU_DEP_3)
	v_cndmask_b32_e64 v4, v16, v4, s2
	v_cndmask_b32_e32 v10, v15, v12, vcc_lo
	v_add_co_u32 v12, vcc_lo, v8, 1
	v_add_co_ci_u32_e32 v15, vcc_lo, 0, v9, vcc_lo
	v_cmp_ne_u32_e32 vcc_lo, 0, v10
	s_delay_alu instid0(VALU_DEP_2) | instskip(SKIP_2) | instid1(VALU_DEP_3)
	v_dual_cndmask_b32 v5, v15, v14 :: v_dual_cndmask_b32 v10, v12, v11
	v_cmp_ne_u32_e32 vcc_lo, 0, v4
	v_xor_b32_e32 v11, s4, v13
	v_dual_cndmask_b32 v4, v9, v5 :: v_dual_cndmask_b32 v5, v8, v10
	s_delay_alu instid0(VALU_DEP_1) | instskip(NEXT) | instid1(VALU_DEP_2)
	v_xor_b32_e32 v8, v4, v11
	v_xor_b32_e32 v5, v5, v11
	s_delay_alu instid0(VALU_DEP_1) | instskip(NEXT) | instid1(VALU_DEP_3)
	v_sub_co_u32 v4, vcc_lo, v5, v11
	v_sub_co_ci_u32_e32 v5, vcc_lo, v8, v11, vcc_lo
.LBB8_7:
	s_and_not1_saveexec_b32 s2, s9
	s_cbranch_execz .LBB8_9
; %bb.8:
	v_cvt_f32_u32_e32 v4, s3
	s_sub_i32 s4, 0, s3
	s_delay_alu instid0(VALU_DEP_1) | instskip(SKIP_2) | instid1(VALU_DEP_1)
	v_rcp_iflag_f32_e32 v4, v4
	s_waitcnt_depctr 0xfff
	v_mul_f32_e32 v4, 0x4f7ffffe, v4
	v_cvt_u32_f32_e32 v4, v4
	s_delay_alu instid0(VALU_DEP_1) | instskip(NEXT) | instid1(VALU_DEP_1)
	v_mul_lo_u32 v5, s4, v4
	v_mul_hi_u32 v5, v4, v5
	s_delay_alu instid0(VALU_DEP_1) | instskip(NEXT) | instid1(VALU_DEP_1)
	v_add_nc_u32_e32 v4, v4, v5
	v_mul_hi_u32 v4, v2, v4
	s_delay_alu instid0(VALU_DEP_1) | instskip(SKIP_1) | instid1(VALU_DEP_2)
	v_mul_lo_u32 v5, v4, s3
	v_add_nc_u32_e32 v8, 1, v4
	v_sub_nc_u32_e32 v5, v2, v5
	s_delay_alu instid0(VALU_DEP_1) | instskip(SKIP_1) | instid1(VALU_DEP_2)
	v_subrev_nc_u32_e32 v9, s3, v5
	v_cmp_le_u32_e32 vcc_lo, s3, v5
	v_dual_cndmask_b32 v5, v5, v9 :: v_dual_cndmask_b32 v4, v4, v8
	s_delay_alu instid0(VALU_DEP_1) | instskip(NEXT) | instid1(VALU_DEP_2)
	v_cmp_le_u32_e32 vcc_lo, s3, v5
	v_dual_mov_b32 v5, 0 :: v_dual_add_nc_u32 v8, 1, v4
	s_delay_alu instid0(VALU_DEP_1)
	v_cndmask_b32_e32 v4, v4, v8, vcc_lo
.LBB8_9:
	s_or_b32 exec_lo, exec_lo, s2
	s_delay_alu instid0(VALU_DEP_1) | instskip(NEXT) | instid1(VALU_DEP_2)
	v_mul_lo_u32 v10, s8, v4
	v_mul_lo_u32 v11, s3, v5
	v_mad_u64_u32 v[8:9], null, s3, v4, 0
	s_delay_alu instid0(VALU_DEP_1) | instskip(NEXT) | instid1(VALU_DEP_2)
	v_add3_u32 v9, v9, v11, v10
	v_sub_co_u32 v12, vcc_lo, v2, v8
	v_mov_b32_e32 v2, 0
	s_delay_alu instid0(VALU_DEP_3) | instskip(NEXT) | instid1(VALU_DEP_1)
	v_sub_co_ci_u32_e32 v13, vcc_lo, v3, v9, vcc_lo
	v_or_b32_e32 v3, s23, v13
	s_delay_alu instid0(VALU_DEP_1) | instskip(SKIP_1) | instid1(SALU_CYCLE_1)
	v_cmp_ne_u64_e32 vcc_lo, 0, v[2:3]
                                        ; implicit-def: $vgpr2_vgpr3
	s_and_saveexec_b32 s2, vcc_lo
	s_xor_b32 s3, exec_lo, s2
	s_cbranch_execz .LBB8_11
; %bb.10:
	s_ashr_i32 s4, s23, 31
	s_delay_alu instid0(SALU_CYCLE_1) | instskip(SKIP_2) | instid1(SALU_CYCLE_1)
	s_add_u32 s6, s22, s4
	s_mov_b32 s5, s4
	s_addc_u32 s7, s23, s4
	s_xor_b64 s[6:7], s[6:7], s[4:5]
	s_delay_alu instid0(SALU_CYCLE_1) | instskip(SKIP_3) | instid1(VALU_DEP_1)
	v_cvt_f32_u32_e32 v2, s6
	v_cvt_f32_u32_e32 v3, s7
	s_sub_u32 s2, 0, s6
	s_subb_u32 s5, 0, s7
	v_fmamk_f32 v2, v3, 0x4f800000, v2
	s_delay_alu instid0(VALU_DEP_1) | instskip(SKIP_2) | instid1(VALU_DEP_1)
	v_rcp_f32_e32 v2, v2
	s_waitcnt_depctr 0xfff
	v_mul_f32_e32 v2, 0x5f7ffffc, v2
	v_mul_f32_e32 v3, 0x2f800000, v2
	s_delay_alu instid0(VALU_DEP_1) | instskip(NEXT) | instid1(VALU_DEP_1)
	v_trunc_f32_e32 v3, v3
	v_fmamk_f32 v2, v3, 0xcf800000, v2
	v_cvt_u32_f32_e32 v3, v3
	s_delay_alu instid0(VALU_DEP_2) | instskip(NEXT) | instid1(VALU_DEP_2)
	v_cvt_u32_f32_e32 v2, v2
	v_mul_lo_u32 v8, s2, v3
	s_delay_alu instid0(VALU_DEP_2) | instskip(SKIP_1) | instid1(VALU_DEP_2)
	v_mul_hi_u32 v9, s2, v2
	v_mul_lo_u32 v10, s5, v2
	v_add_nc_u32_e32 v8, v9, v8
	v_mul_lo_u32 v9, s2, v2
	s_delay_alu instid0(VALU_DEP_2) | instskip(NEXT) | instid1(VALU_DEP_2)
	v_add_nc_u32_e32 v8, v8, v10
	v_mul_hi_u32 v10, v2, v9
	s_delay_alu instid0(VALU_DEP_2)
	v_mul_lo_u32 v11, v2, v8
	v_mul_hi_u32 v14, v2, v8
	v_mul_hi_u32 v15, v3, v9
	v_mul_lo_u32 v9, v3, v9
	v_mul_hi_u32 v16, v3, v8
	v_mul_lo_u32 v8, v3, v8
	v_add_co_u32 v10, vcc_lo, v10, v11
	v_add_co_ci_u32_e32 v11, vcc_lo, 0, v14, vcc_lo
	s_delay_alu instid0(VALU_DEP_2) | instskip(NEXT) | instid1(VALU_DEP_2)
	v_add_co_u32 v9, vcc_lo, v10, v9
	v_add_co_ci_u32_e32 v9, vcc_lo, v11, v15, vcc_lo
	v_add_co_ci_u32_e32 v10, vcc_lo, 0, v16, vcc_lo
	v_ashrrev_i32_e32 v15, 31, v13
	s_delay_alu instid0(VALU_DEP_3) | instskip(NEXT) | instid1(VALU_DEP_3)
	v_add_co_u32 v8, vcc_lo, v9, v8
	v_add_co_ci_u32_e32 v9, vcc_lo, 0, v10, vcc_lo
	s_delay_alu instid0(VALU_DEP_2) | instskip(NEXT) | instid1(VALU_DEP_2)
	v_add_co_u32 v2, vcc_lo, v2, v8
	v_add_co_ci_u32_e32 v3, vcc_lo, v3, v9, vcc_lo
	s_delay_alu instid0(VALU_DEP_2) | instskip(SKIP_1) | instid1(VALU_DEP_3)
	v_mul_hi_u32 v8, s2, v2
	v_mul_lo_u32 v10, s5, v2
	v_mul_lo_u32 v9, s2, v3
	s_delay_alu instid0(VALU_DEP_1) | instskip(SKIP_1) | instid1(VALU_DEP_2)
	v_add_nc_u32_e32 v8, v8, v9
	v_mul_lo_u32 v9, s2, v2
	v_add_nc_u32_e32 v8, v8, v10
	s_delay_alu instid0(VALU_DEP_2) | instskip(NEXT) | instid1(VALU_DEP_2)
	v_mul_hi_u32 v10, v2, v9
	v_mul_lo_u32 v11, v2, v8
	v_mul_hi_u32 v14, v2, v8
	v_mul_hi_u32 v16, v3, v9
	v_mul_lo_u32 v9, v3, v9
	v_mul_hi_u32 v17, v3, v8
	v_mul_lo_u32 v8, v3, v8
	v_add_co_u32 v10, vcc_lo, v10, v11
	v_add_co_ci_u32_e32 v11, vcc_lo, 0, v14, vcc_lo
	s_delay_alu instid0(VALU_DEP_2) | instskip(NEXT) | instid1(VALU_DEP_2)
	v_add_co_u32 v9, vcc_lo, v10, v9
	v_add_co_ci_u32_e32 v9, vcc_lo, v11, v16, vcc_lo
	v_add_co_ci_u32_e32 v10, vcc_lo, 0, v17, vcc_lo
	v_add_co_u32 v11, vcc_lo, v12, v15
	v_add_co_ci_u32_e32 v14, vcc_lo, v13, v15, vcc_lo
	s_delay_alu instid0(VALU_DEP_4) | instskip(NEXT) | instid1(VALU_DEP_4)
	v_add_co_u32 v8, vcc_lo, v9, v8
	v_add_co_ci_u32_e32 v9, vcc_lo, 0, v10, vcc_lo
	s_delay_alu instid0(VALU_DEP_4) | instskip(NEXT) | instid1(VALU_DEP_3)
	v_xor_b32_e32 v16, v11, v15
	v_add_co_u32 v10, vcc_lo, v2, v8
	s_delay_alu instid0(VALU_DEP_3) | instskip(SKIP_1) | instid1(VALU_DEP_3)
	v_add_co_ci_u32_e32 v17, vcc_lo, v3, v9, vcc_lo
	v_xor_b32_e32 v14, v14, v15
	v_mul_hi_u32 v18, v16, v10
	s_delay_alu instid0(VALU_DEP_3) | instskip(NEXT) | instid1(VALU_DEP_3)
	v_mad_u64_u32 v[2:3], null, v16, v17, 0
	v_mad_u64_u32 v[8:9], null, v14, v10, 0
	;; [unrolled: 1-line block ×3, first 2 shown]
	s_delay_alu instid0(VALU_DEP_3) | instskip(NEXT) | instid1(VALU_DEP_4)
	v_add_co_u32 v2, vcc_lo, v18, v2
	v_add_co_ci_u32_e32 v3, vcc_lo, 0, v3, vcc_lo
	s_delay_alu instid0(VALU_DEP_2) | instskip(NEXT) | instid1(VALU_DEP_2)
	v_add_co_u32 v2, vcc_lo, v2, v8
	v_add_co_ci_u32_e32 v2, vcc_lo, v3, v9, vcc_lo
	v_add_co_ci_u32_e32 v3, vcc_lo, 0, v11, vcc_lo
	s_delay_alu instid0(VALU_DEP_2) | instskip(NEXT) | instid1(VALU_DEP_2)
	v_add_co_u32 v8, vcc_lo, v2, v10
	v_add_co_ci_u32_e32 v9, vcc_lo, 0, v3, vcc_lo
	s_delay_alu instid0(VALU_DEP_2) | instskip(SKIP_1) | instid1(VALU_DEP_3)
	v_mul_lo_u32 v10, s7, v8
	v_mad_u64_u32 v[2:3], null, s6, v8, 0
	v_mul_lo_u32 v11, s6, v9
	s_delay_alu instid0(VALU_DEP_2) | instskip(NEXT) | instid1(VALU_DEP_2)
	v_sub_co_u32 v2, vcc_lo, v16, v2
	v_add3_u32 v3, v3, v11, v10
	s_delay_alu instid0(VALU_DEP_1) | instskip(NEXT) | instid1(VALU_DEP_1)
	v_sub_nc_u32_e32 v10, v14, v3
	v_subrev_co_ci_u32_e64 v10, s2, s7, v10, vcc_lo
	v_add_co_u32 v11, s2, v8, 2
	s_delay_alu instid0(VALU_DEP_1) | instskip(SKIP_3) | instid1(VALU_DEP_3)
	v_add_co_ci_u32_e64 v16, s2, 0, v9, s2
	v_sub_co_u32 v17, s2, v2, s6
	v_sub_co_ci_u32_e32 v3, vcc_lo, v14, v3, vcc_lo
	v_subrev_co_ci_u32_e64 v10, s2, 0, v10, s2
	v_cmp_le_u32_e32 vcc_lo, s6, v17
	s_delay_alu instid0(VALU_DEP_3) | instskip(SKIP_1) | instid1(VALU_DEP_4)
	v_cmp_eq_u32_e64 s2, s7, v3
	v_cndmask_b32_e64 v14, 0, -1, vcc_lo
	v_cmp_le_u32_e32 vcc_lo, s7, v10
	v_cndmask_b32_e64 v17, 0, -1, vcc_lo
	v_cmp_le_u32_e32 vcc_lo, s6, v2
	;; [unrolled: 2-line block ×3, first 2 shown]
	v_cndmask_b32_e64 v18, 0, -1, vcc_lo
	v_cmp_eq_u32_e32 vcc_lo, s7, v10
	s_delay_alu instid0(VALU_DEP_2) | instskip(SKIP_3) | instid1(VALU_DEP_3)
	v_cndmask_b32_e64 v2, v18, v2, s2
	v_cndmask_b32_e32 v10, v17, v14, vcc_lo
	v_add_co_u32 v14, vcc_lo, v8, 1
	v_add_co_ci_u32_e32 v17, vcc_lo, 0, v9, vcc_lo
	v_cmp_ne_u32_e32 vcc_lo, 0, v10
	s_delay_alu instid0(VALU_DEP_2) | instskip(SKIP_2) | instid1(VALU_DEP_3)
	v_dual_cndmask_b32 v3, v17, v16 :: v_dual_cndmask_b32 v10, v14, v11
	v_cmp_ne_u32_e32 vcc_lo, 0, v2
	v_xor_b32_e32 v11, s4, v15
	v_dual_cndmask_b32 v2, v9, v3 :: v_dual_cndmask_b32 v3, v8, v10
	s_delay_alu instid0(VALU_DEP_1) | instskip(NEXT) | instid1(VALU_DEP_2)
	v_xor_b32_e32 v8, v2, v11
	v_xor_b32_e32 v3, v3, v11
	s_delay_alu instid0(VALU_DEP_1) | instskip(NEXT) | instid1(VALU_DEP_3)
	v_sub_co_u32 v2, vcc_lo, v3, v11
	v_sub_co_ci_u32_e32 v3, vcc_lo, v8, v11, vcc_lo
.LBB8_11:
	s_and_not1_saveexec_b32 s2, s3
	s_cbranch_execz .LBB8_13
; %bb.12:
	v_cvt_f32_u32_e32 v2, s22
	s_sub_i32 s3, 0, s22
	s_delay_alu instid0(VALU_DEP_1) | instskip(SKIP_2) | instid1(VALU_DEP_1)
	v_rcp_iflag_f32_e32 v2, v2
	s_waitcnt_depctr 0xfff
	v_mul_f32_e32 v2, 0x4f7ffffe, v2
	v_cvt_u32_f32_e32 v2, v2
	s_delay_alu instid0(VALU_DEP_1) | instskip(NEXT) | instid1(VALU_DEP_1)
	v_mul_lo_u32 v3, s3, v2
	v_mul_hi_u32 v3, v2, v3
	s_delay_alu instid0(VALU_DEP_1) | instskip(NEXT) | instid1(VALU_DEP_1)
	v_add_nc_u32_e32 v2, v2, v3
	v_mul_hi_u32 v2, v12, v2
	s_delay_alu instid0(VALU_DEP_1) | instskip(SKIP_1) | instid1(VALU_DEP_2)
	v_mul_lo_u32 v3, v2, s22
	v_add_nc_u32_e32 v8, 1, v2
	v_sub_nc_u32_e32 v3, v12, v3
	s_delay_alu instid0(VALU_DEP_1) | instskip(SKIP_1) | instid1(VALU_DEP_2)
	v_subrev_nc_u32_e32 v9, s22, v3
	v_cmp_le_u32_e32 vcc_lo, s22, v3
	v_dual_cndmask_b32 v3, v3, v9 :: v_dual_cndmask_b32 v2, v2, v8
	s_delay_alu instid0(VALU_DEP_1) | instskip(NEXT) | instid1(VALU_DEP_2)
	v_cmp_le_u32_e32 vcc_lo, s22, v3
	v_dual_mov_b32 v3, 0 :: v_dual_add_nc_u32 v8, 1, v2
	s_delay_alu instid0(VALU_DEP_1)
	v_cndmask_b32_e32 v2, v2, v8, vcc_lo
.LBB8_13:
	s_or_b32 exec_lo, exec_lo, s2
	s_load_b512 s[36:51], s[0:1], 0x40
	v_mov_b32_e32 v8, 0
	s_waitcnt lgkmcnt(0)
	s_mul_i32 s2, s42, s41
	s_mul_hi_u32 s4, s42, s40
	s_mul_i32 s5, s43, s40
	s_mul_i32 s3, s42, s40
	s_add_i32 s8, s4, s2
	s_mul_i32 s2, s3, s45
	s_mul_hi_u32 s4, s3, s44
	s_add_i32 s8, s8, s5
	s_add_i32 s2, s4, s2
	s_mul_i32 s4, s8, s44
	s_mul_i32 s10, s3, s44
	s_add_i32 s9, s2, s4
	s_delay_alu instid0(SALU_CYCLE_1) | instskip(NEXT) | instid1(VALU_DEP_1)
	v_or_b32_e32 v9, s9, v7
	v_cmp_ne_u64_e32 vcc_lo, 0, v[8:9]
                                        ; implicit-def: $vgpr8_vgpr9
	s_and_saveexec_b32 s2, vcc_lo
	s_delay_alu instid0(SALU_CYCLE_1)
	s_xor_b32 s11, exec_lo, s2
	s_cbranch_execz .LBB8_15
; %bb.14:
	s_ashr_i32 s4, s9, 31
	s_delay_alu instid0(SALU_CYCLE_1) | instskip(SKIP_2) | instid1(SALU_CYCLE_1)
	s_add_u32 s6, s10, s4
	s_mov_b32 s5, s4
	s_addc_u32 s7, s9, s4
	s_xor_b64 s[6:7], s[6:7], s[4:5]
	s_delay_alu instid0(SALU_CYCLE_1) | instskip(SKIP_3) | instid1(VALU_DEP_1)
	v_cvt_f32_u32_e32 v8, s6
	v_cvt_f32_u32_e32 v9, s7
	s_sub_u32 s2, 0, s6
	s_subb_u32 s5, 0, s7
	v_fmamk_f32 v8, v9, 0x4f800000, v8
	s_delay_alu instid0(VALU_DEP_1) | instskip(SKIP_2) | instid1(VALU_DEP_1)
	v_rcp_f32_e32 v8, v8
	s_waitcnt_depctr 0xfff
	v_mul_f32_e32 v8, 0x5f7ffffc, v8
	v_mul_f32_e32 v9, 0x2f800000, v8
	s_delay_alu instid0(VALU_DEP_1) | instskip(NEXT) | instid1(VALU_DEP_1)
	v_trunc_f32_e32 v9, v9
	v_fmamk_f32 v8, v9, 0xcf800000, v8
	v_cvt_u32_f32_e32 v9, v9
	s_delay_alu instid0(VALU_DEP_2) | instskip(NEXT) | instid1(VALU_DEP_2)
	v_cvt_u32_f32_e32 v8, v8
	v_mul_lo_u32 v10, s2, v9
	s_delay_alu instid0(VALU_DEP_2) | instskip(SKIP_1) | instid1(VALU_DEP_2)
	v_mul_hi_u32 v11, s2, v8
	v_mul_lo_u32 v14, s5, v8
	v_add_nc_u32_e32 v10, v11, v10
	v_mul_lo_u32 v11, s2, v8
	s_delay_alu instid0(VALU_DEP_2) | instskip(NEXT) | instid1(VALU_DEP_2)
	v_add_nc_u32_e32 v10, v10, v14
	v_mul_hi_u32 v14, v8, v11
	s_delay_alu instid0(VALU_DEP_2)
	v_mul_lo_u32 v15, v8, v10
	v_mul_hi_u32 v16, v8, v10
	v_mul_hi_u32 v17, v9, v11
	v_mul_lo_u32 v11, v9, v11
	v_mul_hi_u32 v18, v9, v10
	v_mul_lo_u32 v10, v9, v10
	v_add_co_u32 v14, vcc_lo, v14, v15
	v_add_co_ci_u32_e32 v15, vcc_lo, 0, v16, vcc_lo
	s_delay_alu instid0(VALU_DEP_2) | instskip(NEXT) | instid1(VALU_DEP_2)
	v_add_co_u32 v11, vcc_lo, v14, v11
	v_add_co_ci_u32_e32 v11, vcc_lo, v15, v17, vcc_lo
	v_add_co_ci_u32_e32 v14, vcc_lo, 0, v18, vcc_lo
	s_delay_alu instid0(VALU_DEP_2) | instskip(NEXT) | instid1(VALU_DEP_2)
	v_add_co_u32 v10, vcc_lo, v11, v10
	v_add_co_ci_u32_e32 v11, vcc_lo, 0, v14, vcc_lo
	s_delay_alu instid0(VALU_DEP_2) | instskip(NEXT) | instid1(VALU_DEP_2)
	v_add_co_u32 v8, vcc_lo, v8, v10
	v_add_co_ci_u32_e32 v9, vcc_lo, v9, v11, vcc_lo
	s_delay_alu instid0(VALU_DEP_2) | instskip(SKIP_1) | instid1(VALU_DEP_3)
	v_mul_hi_u32 v10, s2, v8
	v_mul_lo_u32 v14, s5, v8
	v_mul_lo_u32 v11, s2, v9
	s_delay_alu instid0(VALU_DEP_1) | instskip(SKIP_1) | instid1(VALU_DEP_2)
	v_add_nc_u32_e32 v10, v10, v11
	v_mul_lo_u32 v11, s2, v8
	v_add_nc_u32_e32 v10, v10, v14
	s_delay_alu instid0(VALU_DEP_2) | instskip(NEXT) | instid1(VALU_DEP_2)
	v_mul_hi_u32 v14, v8, v11
	v_mul_lo_u32 v15, v8, v10
	v_mul_hi_u32 v16, v8, v10
	v_mul_hi_u32 v17, v9, v11
	v_mul_lo_u32 v11, v9, v11
	v_mul_hi_u32 v18, v9, v10
	v_mul_lo_u32 v10, v9, v10
	v_add_co_u32 v14, vcc_lo, v14, v15
	v_add_co_ci_u32_e32 v15, vcc_lo, 0, v16, vcc_lo
	s_delay_alu instid0(VALU_DEP_2) | instskip(NEXT) | instid1(VALU_DEP_2)
	v_add_co_u32 v11, vcc_lo, v14, v11
	v_add_co_ci_u32_e32 v11, vcc_lo, v15, v17, vcc_lo
	v_add_co_ci_u32_e32 v14, vcc_lo, 0, v18, vcc_lo
	s_delay_alu instid0(VALU_DEP_2) | instskip(NEXT) | instid1(VALU_DEP_2)
	v_add_co_u32 v10, vcc_lo, v11, v10
	v_add_co_ci_u32_e32 v11, vcc_lo, 0, v14, vcc_lo
	s_delay_alu instid0(VALU_DEP_2) | instskip(NEXT) | instid1(VALU_DEP_2)
	v_add_co_u32 v14, vcc_lo, v8, v10
	v_add_co_ci_u32_e32 v16, vcc_lo, v9, v11, vcc_lo
	s_delay_alu instid0(VALU_DEP_2) | instskip(SKIP_1) | instid1(VALU_DEP_3)
	v_mul_hi_u32 v17, v6, v14
	v_mad_u64_u32 v[10:11], null, v7, v14, 0
	v_mad_u64_u32 v[8:9], null, v6, v16, 0
	;; [unrolled: 1-line block ×3, first 2 shown]
	s_delay_alu instid0(VALU_DEP_2) | instskip(NEXT) | instid1(VALU_DEP_3)
	v_add_co_u32 v8, vcc_lo, v17, v8
	v_add_co_ci_u32_e32 v9, vcc_lo, 0, v9, vcc_lo
	s_delay_alu instid0(VALU_DEP_2) | instskip(NEXT) | instid1(VALU_DEP_2)
	v_add_co_u32 v8, vcc_lo, v8, v10
	v_add_co_ci_u32_e32 v8, vcc_lo, v9, v11, vcc_lo
	v_add_co_ci_u32_e32 v9, vcc_lo, 0, v15, vcc_lo
	s_delay_alu instid0(VALU_DEP_2) | instskip(NEXT) | instid1(VALU_DEP_2)
	v_add_co_u32 v10, vcc_lo, v8, v14
	v_add_co_ci_u32_e32 v11, vcc_lo, 0, v9, vcc_lo
	s_delay_alu instid0(VALU_DEP_2) | instskip(SKIP_1) | instid1(VALU_DEP_3)
	v_mul_lo_u32 v14, s7, v10
	v_mad_u64_u32 v[8:9], null, s6, v10, 0
	v_mul_lo_u32 v15, s6, v11
	s_delay_alu instid0(VALU_DEP_2) | instskip(NEXT) | instid1(VALU_DEP_2)
	v_sub_co_u32 v8, vcc_lo, v6, v8
	v_add3_u32 v9, v9, v15, v14
	s_delay_alu instid0(VALU_DEP_1) | instskip(NEXT) | instid1(VALU_DEP_1)
	v_sub_nc_u32_e32 v14, v7, v9
	v_subrev_co_ci_u32_e64 v14, s2, s7, v14, vcc_lo
	v_add_co_u32 v15, s2, v10, 2
	s_delay_alu instid0(VALU_DEP_1) | instskip(SKIP_3) | instid1(VALU_DEP_3)
	v_add_co_ci_u32_e64 v16, s2, 0, v11, s2
	v_sub_co_u32 v17, s2, v8, s6
	v_sub_co_ci_u32_e32 v9, vcc_lo, v7, v9, vcc_lo
	v_subrev_co_ci_u32_e64 v14, s2, 0, v14, s2
	v_cmp_le_u32_e32 vcc_lo, s6, v17
	s_delay_alu instid0(VALU_DEP_3) | instskip(SKIP_1) | instid1(VALU_DEP_4)
	v_cmp_eq_u32_e64 s2, s7, v9
	v_cndmask_b32_e64 v17, 0, -1, vcc_lo
	v_cmp_le_u32_e32 vcc_lo, s7, v14
	v_cndmask_b32_e64 v18, 0, -1, vcc_lo
	v_cmp_le_u32_e32 vcc_lo, s6, v8
	;; [unrolled: 2-line block ×3, first 2 shown]
	v_cndmask_b32_e64 v19, 0, -1, vcc_lo
	v_cmp_eq_u32_e32 vcc_lo, s7, v14
	s_delay_alu instid0(VALU_DEP_2) | instskip(SKIP_3) | instid1(VALU_DEP_3)
	v_cndmask_b32_e64 v8, v19, v8, s2
	v_cndmask_b32_e32 v14, v18, v17, vcc_lo
	v_add_co_u32 v17, vcc_lo, v10, 1
	v_add_co_ci_u32_e32 v18, vcc_lo, 0, v11, vcc_lo
	v_cmp_ne_u32_e32 vcc_lo, 0, v14
	s_delay_alu instid0(VALU_DEP_2) | instskip(SKIP_1) | instid1(VALU_DEP_2)
	v_dual_cndmask_b32 v9, v18, v16 :: v_dual_cndmask_b32 v14, v17, v15
	v_cmp_ne_u32_e32 vcc_lo, 0, v8
	v_dual_cndmask_b32 v8, v11, v9 :: v_dual_cndmask_b32 v9, v10, v14
	s_delay_alu instid0(VALU_DEP_1) | instskip(NEXT) | instid1(VALU_DEP_2)
	v_xor_b32_e32 v10, s4, v8
	v_xor_b32_e32 v9, s4, v9
	s_delay_alu instid0(VALU_DEP_1) | instskip(NEXT) | instid1(VALU_DEP_3)
	v_sub_co_u32 v8, vcc_lo, v9, s4
	v_subrev_co_ci_u32_e32 v9, vcc_lo, s4, v10, vcc_lo
.LBB8_15:
	s_and_not1_saveexec_b32 s2, s11
	s_cbranch_execz .LBB8_17
; %bb.16:
	v_cvt_f32_u32_e32 v8, s10
	s_sub_i32 s4, 0, s10
	s_delay_alu instid0(VALU_DEP_1) | instskip(SKIP_2) | instid1(VALU_DEP_1)
	v_rcp_iflag_f32_e32 v8, v8
	s_waitcnt_depctr 0xfff
	v_mul_f32_e32 v8, 0x4f7ffffe, v8
	v_cvt_u32_f32_e32 v8, v8
	s_delay_alu instid0(VALU_DEP_1) | instskip(NEXT) | instid1(VALU_DEP_1)
	v_mul_lo_u32 v9, s4, v8
	v_mul_hi_u32 v9, v8, v9
	s_delay_alu instid0(VALU_DEP_1) | instskip(NEXT) | instid1(VALU_DEP_1)
	v_add_nc_u32_e32 v8, v8, v9
	v_mul_hi_u32 v8, v6, v8
	s_delay_alu instid0(VALU_DEP_1) | instskip(SKIP_1) | instid1(VALU_DEP_2)
	v_mul_lo_u32 v9, v8, s10
	v_add_nc_u32_e32 v10, 1, v8
	v_sub_nc_u32_e32 v9, v6, v9
	s_delay_alu instid0(VALU_DEP_1) | instskip(SKIP_1) | instid1(VALU_DEP_2)
	v_subrev_nc_u32_e32 v11, s10, v9
	v_cmp_le_u32_e32 vcc_lo, s10, v9
	v_dual_cndmask_b32 v9, v9, v11 :: v_dual_cndmask_b32 v8, v8, v10
	s_delay_alu instid0(VALU_DEP_1) | instskip(NEXT) | instid1(VALU_DEP_2)
	v_cmp_le_u32_e32 vcc_lo, s10, v9
	v_dual_mov_b32 v9, 0 :: v_dual_add_nc_u32 v10, 1, v8
	s_delay_alu instid0(VALU_DEP_1)
	v_cndmask_b32_e32 v8, v8, v10, vcc_lo
.LBB8_17:
	s_or_b32 exec_lo, exec_lo, s2
	s_delay_alu instid0(VALU_DEP_1) | instskip(NEXT) | instid1(VALU_DEP_2)
	v_mul_lo_u32 v14, s9, v8
	v_mul_lo_u32 v15, s10, v9
	v_mad_u64_u32 v[10:11], null, s10, v8, 0
	s_delay_alu instid0(VALU_DEP_1) | instskip(NEXT) | instid1(VALU_DEP_2)
	v_add3_u32 v11, v11, v15, v14
	v_sub_co_u32 v10, vcc_lo, v6, v10
	v_mov_b32_e32 v6, 0
	s_delay_alu instid0(VALU_DEP_3) | instskip(NEXT) | instid1(VALU_DEP_1)
	v_sub_co_ci_u32_e32 v11, vcc_lo, v7, v11, vcc_lo
	v_or_b32_e32 v7, s8, v11
	s_delay_alu instid0(VALU_DEP_1) | instskip(SKIP_1) | instid1(SALU_CYCLE_1)
	v_cmp_ne_u64_e32 vcc_lo, 0, v[6:7]
                                        ; implicit-def: $vgpr6_vgpr7
	s_and_saveexec_b32 s2, vcc_lo
	s_xor_b32 s9, exec_lo, s2
	s_cbranch_execz .LBB8_19
; %bb.18:
	s_ashr_i32 s4, s8, 31
	s_delay_alu instid0(SALU_CYCLE_1) | instskip(SKIP_2) | instid1(SALU_CYCLE_1)
	s_add_u32 s6, s3, s4
	s_mov_b32 s5, s4
	s_addc_u32 s7, s8, s4
	s_xor_b64 s[6:7], s[6:7], s[4:5]
	s_delay_alu instid0(SALU_CYCLE_1) | instskip(SKIP_3) | instid1(VALU_DEP_1)
	v_cvt_f32_u32_e32 v6, s6
	v_cvt_f32_u32_e32 v7, s7
	s_sub_u32 s2, 0, s6
	s_subb_u32 s5, 0, s7
	v_fmamk_f32 v6, v7, 0x4f800000, v6
	s_delay_alu instid0(VALU_DEP_1) | instskip(SKIP_2) | instid1(VALU_DEP_1)
	v_rcp_f32_e32 v6, v6
	s_waitcnt_depctr 0xfff
	v_mul_f32_e32 v6, 0x5f7ffffc, v6
	v_mul_f32_e32 v7, 0x2f800000, v6
	s_delay_alu instid0(VALU_DEP_1) | instskip(NEXT) | instid1(VALU_DEP_1)
	v_trunc_f32_e32 v7, v7
	v_fmamk_f32 v6, v7, 0xcf800000, v6
	v_cvt_u32_f32_e32 v7, v7
	s_delay_alu instid0(VALU_DEP_2) | instskip(NEXT) | instid1(VALU_DEP_2)
	v_cvt_u32_f32_e32 v6, v6
	v_mul_lo_u32 v14, s2, v7
	s_delay_alu instid0(VALU_DEP_2) | instskip(SKIP_1) | instid1(VALU_DEP_2)
	v_mul_hi_u32 v15, s2, v6
	v_mul_lo_u32 v16, s5, v6
	v_add_nc_u32_e32 v14, v15, v14
	v_mul_lo_u32 v15, s2, v6
	s_delay_alu instid0(VALU_DEP_2) | instskip(NEXT) | instid1(VALU_DEP_2)
	v_add_nc_u32_e32 v14, v14, v16
	v_mul_hi_u32 v16, v6, v15
	s_delay_alu instid0(VALU_DEP_2)
	v_mul_lo_u32 v17, v6, v14
	v_mul_hi_u32 v18, v6, v14
	v_mul_hi_u32 v19, v7, v15
	v_mul_lo_u32 v15, v7, v15
	v_mul_hi_u32 v20, v7, v14
	v_mul_lo_u32 v14, v7, v14
	v_add_co_u32 v16, vcc_lo, v16, v17
	v_add_co_ci_u32_e32 v17, vcc_lo, 0, v18, vcc_lo
	s_delay_alu instid0(VALU_DEP_2) | instskip(NEXT) | instid1(VALU_DEP_2)
	v_add_co_u32 v15, vcc_lo, v16, v15
	v_add_co_ci_u32_e32 v15, vcc_lo, v17, v19, vcc_lo
	v_add_co_ci_u32_e32 v16, vcc_lo, 0, v20, vcc_lo
	v_ashrrev_i32_e32 v19, 31, v11
	s_delay_alu instid0(VALU_DEP_3) | instskip(NEXT) | instid1(VALU_DEP_3)
	v_add_co_u32 v14, vcc_lo, v15, v14
	v_add_co_ci_u32_e32 v15, vcc_lo, 0, v16, vcc_lo
	s_delay_alu instid0(VALU_DEP_2) | instskip(NEXT) | instid1(VALU_DEP_2)
	v_add_co_u32 v6, vcc_lo, v6, v14
	v_add_co_ci_u32_e32 v7, vcc_lo, v7, v15, vcc_lo
	s_delay_alu instid0(VALU_DEP_2) | instskip(SKIP_1) | instid1(VALU_DEP_3)
	v_mul_hi_u32 v14, s2, v6
	v_mul_lo_u32 v16, s5, v6
	v_mul_lo_u32 v15, s2, v7
	s_delay_alu instid0(VALU_DEP_1) | instskip(SKIP_1) | instid1(VALU_DEP_2)
	v_add_nc_u32_e32 v14, v14, v15
	v_mul_lo_u32 v15, s2, v6
	v_add_nc_u32_e32 v14, v14, v16
	s_delay_alu instid0(VALU_DEP_2) | instskip(NEXT) | instid1(VALU_DEP_2)
	v_mul_hi_u32 v16, v6, v15
	v_mul_lo_u32 v17, v6, v14
	v_mul_hi_u32 v18, v6, v14
	v_mul_hi_u32 v20, v7, v15
	v_mul_lo_u32 v15, v7, v15
	v_mul_hi_u32 v21, v7, v14
	v_mul_lo_u32 v14, v7, v14
	v_add_co_u32 v16, vcc_lo, v16, v17
	v_add_co_ci_u32_e32 v17, vcc_lo, 0, v18, vcc_lo
	s_delay_alu instid0(VALU_DEP_2) | instskip(NEXT) | instid1(VALU_DEP_2)
	v_add_co_u32 v15, vcc_lo, v16, v15
	v_add_co_ci_u32_e32 v15, vcc_lo, v17, v20, vcc_lo
	v_add_co_ci_u32_e32 v16, vcc_lo, 0, v21, vcc_lo
	v_add_co_u32 v17, vcc_lo, v10, v19
	v_add_co_ci_u32_e32 v18, vcc_lo, v11, v19, vcc_lo
	s_delay_alu instid0(VALU_DEP_4) | instskip(NEXT) | instid1(VALU_DEP_4)
	v_add_co_u32 v14, vcc_lo, v15, v14
	v_add_co_ci_u32_e32 v15, vcc_lo, 0, v16, vcc_lo
	s_delay_alu instid0(VALU_DEP_4) | instskip(NEXT) | instid1(VALU_DEP_3)
	v_xor_b32_e32 v20, v17, v19
	v_add_co_u32 v16, vcc_lo, v6, v14
	s_delay_alu instid0(VALU_DEP_3) | instskip(SKIP_1) | instid1(VALU_DEP_3)
	v_add_co_ci_u32_e32 v21, vcc_lo, v7, v15, vcc_lo
	v_xor_b32_e32 v18, v18, v19
	v_mul_hi_u32 v22, v20, v16
	s_delay_alu instid0(VALU_DEP_3) | instskip(NEXT) | instid1(VALU_DEP_3)
	v_mad_u64_u32 v[6:7], null, v20, v21, 0
	v_mad_u64_u32 v[14:15], null, v18, v16, 0
	v_mad_u64_u32 v[16:17], null, v18, v21, 0
	s_delay_alu instid0(VALU_DEP_3) | instskip(NEXT) | instid1(VALU_DEP_4)
	v_add_co_u32 v6, vcc_lo, v22, v6
	v_add_co_ci_u32_e32 v7, vcc_lo, 0, v7, vcc_lo
	s_delay_alu instid0(VALU_DEP_2) | instskip(NEXT) | instid1(VALU_DEP_2)
	v_add_co_u32 v6, vcc_lo, v6, v14
	v_add_co_ci_u32_e32 v6, vcc_lo, v7, v15, vcc_lo
	v_add_co_ci_u32_e32 v7, vcc_lo, 0, v17, vcc_lo
	s_delay_alu instid0(VALU_DEP_2) | instskip(NEXT) | instid1(VALU_DEP_2)
	v_add_co_u32 v14, vcc_lo, v6, v16
	v_add_co_ci_u32_e32 v15, vcc_lo, 0, v7, vcc_lo
	s_delay_alu instid0(VALU_DEP_2) | instskip(SKIP_1) | instid1(VALU_DEP_3)
	v_mul_lo_u32 v16, s7, v14
	v_mad_u64_u32 v[6:7], null, s6, v14, 0
	v_mul_lo_u32 v17, s6, v15
	s_delay_alu instid0(VALU_DEP_2) | instskip(NEXT) | instid1(VALU_DEP_2)
	v_sub_co_u32 v6, vcc_lo, v20, v6
	v_add3_u32 v7, v7, v17, v16
	s_delay_alu instid0(VALU_DEP_1) | instskip(NEXT) | instid1(VALU_DEP_1)
	v_sub_nc_u32_e32 v16, v18, v7
	v_subrev_co_ci_u32_e64 v16, s2, s7, v16, vcc_lo
	v_add_co_u32 v17, s2, v14, 2
	s_delay_alu instid0(VALU_DEP_1) | instskip(SKIP_3) | instid1(VALU_DEP_3)
	v_add_co_ci_u32_e64 v20, s2, 0, v15, s2
	v_sub_co_u32 v21, s2, v6, s6
	v_sub_co_ci_u32_e32 v7, vcc_lo, v18, v7, vcc_lo
	v_subrev_co_ci_u32_e64 v16, s2, 0, v16, s2
	v_cmp_le_u32_e32 vcc_lo, s6, v21
	s_delay_alu instid0(VALU_DEP_3) | instskip(SKIP_1) | instid1(VALU_DEP_4)
	v_cmp_eq_u32_e64 s2, s7, v7
	v_cndmask_b32_e64 v18, 0, -1, vcc_lo
	v_cmp_le_u32_e32 vcc_lo, s7, v16
	v_cndmask_b32_e64 v21, 0, -1, vcc_lo
	v_cmp_le_u32_e32 vcc_lo, s6, v6
	;; [unrolled: 2-line block ×3, first 2 shown]
	v_cndmask_b32_e64 v22, 0, -1, vcc_lo
	v_cmp_eq_u32_e32 vcc_lo, s7, v16
	s_delay_alu instid0(VALU_DEP_2) | instskip(SKIP_3) | instid1(VALU_DEP_3)
	v_cndmask_b32_e64 v6, v22, v6, s2
	v_cndmask_b32_e32 v16, v21, v18, vcc_lo
	v_add_co_u32 v18, vcc_lo, v14, 1
	v_add_co_ci_u32_e32 v21, vcc_lo, 0, v15, vcc_lo
	v_cmp_ne_u32_e32 vcc_lo, 0, v16
	s_delay_alu instid0(VALU_DEP_2) | instskip(SKIP_2) | instid1(VALU_DEP_3)
	v_dual_cndmask_b32 v7, v21, v20 :: v_dual_cndmask_b32 v16, v18, v17
	v_cmp_ne_u32_e32 vcc_lo, 0, v6
	v_xor_b32_e32 v17, s4, v19
	v_dual_cndmask_b32 v6, v15, v7 :: v_dual_cndmask_b32 v7, v14, v16
	s_delay_alu instid0(VALU_DEP_1) | instskip(NEXT) | instid1(VALU_DEP_2)
	v_xor_b32_e32 v14, v6, v17
	v_xor_b32_e32 v7, v7, v17
	s_delay_alu instid0(VALU_DEP_1) | instskip(NEXT) | instid1(VALU_DEP_3)
	v_sub_co_u32 v6, vcc_lo, v7, v17
	v_sub_co_ci_u32_e32 v7, vcc_lo, v14, v17, vcc_lo
.LBB8_19:
	s_and_not1_saveexec_b32 s2, s9
	s_cbranch_execz .LBB8_21
; %bb.20:
	v_cvt_f32_u32_e32 v6, s3
	s_sub_i32 s4, 0, s3
	s_delay_alu instid0(VALU_DEP_1) | instskip(SKIP_2) | instid1(VALU_DEP_1)
	v_rcp_iflag_f32_e32 v6, v6
	s_waitcnt_depctr 0xfff
	v_mul_f32_e32 v6, 0x4f7ffffe, v6
	v_cvt_u32_f32_e32 v6, v6
	s_delay_alu instid0(VALU_DEP_1) | instskip(NEXT) | instid1(VALU_DEP_1)
	v_mul_lo_u32 v7, s4, v6
	v_mul_hi_u32 v7, v6, v7
	s_delay_alu instid0(VALU_DEP_1) | instskip(NEXT) | instid1(VALU_DEP_1)
	v_add_nc_u32_e32 v6, v6, v7
	v_mul_hi_u32 v6, v10, v6
	s_delay_alu instid0(VALU_DEP_1) | instskip(SKIP_1) | instid1(VALU_DEP_2)
	v_mul_lo_u32 v7, v6, s3
	v_add_nc_u32_e32 v14, 1, v6
	v_sub_nc_u32_e32 v7, v10, v7
	s_delay_alu instid0(VALU_DEP_1) | instskip(SKIP_1) | instid1(VALU_DEP_2)
	v_subrev_nc_u32_e32 v15, s3, v7
	v_cmp_le_u32_e32 vcc_lo, s3, v7
	v_dual_cndmask_b32 v7, v7, v15 :: v_dual_cndmask_b32 v6, v6, v14
	s_delay_alu instid0(VALU_DEP_1) | instskip(NEXT) | instid1(VALU_DEP_2)
	v_cmp_le_u32_e32 vcc_lo, s3, v7
	v_dual_mov_b32 v7, 0 :: v_dual_add_nc_u32 v14, 1, v6
	s_delay_alu instid0(VALU_DEP_1)
	v_cndmask_b32_e32 v6, v6, v14, vcc_lo
.LBB8_21:
	s_or_b32 exec_lo, exec_lo, s2
	s_delay_alu instid0(VALU_DEP_1) | instskip(NEXT) | instid1(VALU_DEP_2)
	v_mul_lo_u32 v16, s8, v6
	v_mul_lo_u32 v17, s3, v7
	v_mad_u64_u32 v[14:15], null, s3, v6, 0
	s_delay_alu instid0(VALU_DEP_1) | instskip(NEXT) | instid1(VALU_DEP_2)
	v_add3_u32 v15, v15, v17, v16
	v_sub_co_u32 v14, vcc_lo, v10, v14
	v_mov_b32_e32 v10, 0
	s_delay_alu instid0(VALU_DEP_3) | instskip(NEXT) | instid1(VALU_DEP_1)
	v_sub_co_ci_u32_e32 v15, vcc_lo, v11, v15, vcc_lo
	v_or_b32_e32 v11, s41, v15
	s_delay_alu instid0(VALU_DEP_1) | instskip(SKIP_1) | instid1(SALU_CYCLE_1)
	v_cmp_ne_u64_e32 vcc_lo, 0, v[10:11]
                                        ; implicit-def: $vgpr10_vgpr11
	s_and_saveexec_b32 s2, vcc_lo
	s_xor_b32 s3, exec_lo, s2
	s_cbranch_execz .LBB8_23
; %bb.22:
	s_ashr_i32 s4, s41, 31
	s_delay_alu instid0(SALU_CYCLE_1) | instskip(SKIP_2) | instid1(SALU_CYCLE_1)
	s_add_u32 s6, s40, s4
	s_mov_b32 s5, s4
	s_addc_u32 s7, s41, s4
	s_xor_b64 s[6:7], s[6:7], s[4:5]
	s_delay_alu instid0(SALU_CYCLE_1) | instskip(SKIP_3) | instid1(VALU_DEP_1)
	v_cvt_f32_u32_e32 v10, s6
	v_cvt_f32_u32_e32 v11, s7
	s_sub_u32 s2, 0, s6
	s_subb_u32 s5, 0, s7
	v_fmamk_f32 v10, v11, 0x4f800000, v10
	s_delay_alu instid0(VALU_DEP_1) | instskip(SKIP_2) | instid1(VALU_DEP_1)
	v_rcp_f32_e32 v10, v10
	s_waitcnt_depctr 0xfff
	v_mul_f32_e32 v10, 0x5f7ffffc, v10
	v_mul_f32_e32 v11, 0x2f800000, v10
	s_delay_alu instid0(VALU_DEP_1) | instskip(NEXT) | instid1(VALU_DEP_1)
	v_trunc_f32_e32 v11, v11
	v_fmamk_f32 v10, v11, 0xcf800000, v10
	v_cvt_u32_f32_e32 v11, v11
	s_delay_alu instid0(VALU_DEP_2) | instskip(NEXT) | instid1(VALU_DEP_2)
	v_cvt_u32_f32_e32 v10, v10
	v_mul_lo_u32 v16, s2, v11
	s_delay_alu instid0(VALU_DEP_2) | instskip(SKIP_1) | instid1(VALU_DEP_2)
	v_mul_hi_u32 v17, s2, v10
	v_mul_lo_u32 v18, s5, v10
	v_add_nc_u32_e32 v16, v17, v16
	v_mul_lo_u32 v17, s2, v10
	s_delay_alu instid0(VALU_DEP_2) | instskip(NEXT) | instid1(VALU_DEP_2)
	v_add_nc_u32_e32 v16, v16, v18
	v_mul_hi_u32 v18, v10, v17
	s_delay_alu instid0(VALU_DEP_2)
	v_mul_lo_u32 v19, v10, v16
	v_mul_hi_u32 v20, v10, v16
	v_mul_hi_u32 v21, v11, v17
	v_mul_lo_u32 v17, v11, v17
	v_mul_hi_u32 v22, v11, v16
	v_mul_lo_u32 v16, v11, v16
	v_add_co_u32 v18, vcc_lo, v18, v19
	v_add_co_ci_u32_e32 v19, vcc_lo, 0, v20, vcc_lo
	s_delay_alu instid0(VALU_DEP_2) | instskip(NEXT) | instid1(VALU_DEP_2)
	v_add_co_u32 v17, vcc_lo, v18, v17
	v_add_co_ci_u32_e32 v17, vcc_lo, v19, v21, vcc_lo
	v_add_co_ci_u32_e32 v18, vcc_lo, 0, v22, vcc_lo
	v_ashrrev_i32_e32 v21, 31, v15
	s_delay_alu instid0(VALU_DEP_3) | instskip(NEXT) | instid1(VALU_DEP_3)
	v_add_co_u32 v16, vcc_lo, v17, v16
	v_add_co_ci_u32_e32 v17, vcc_lo, 0, v18, vcc_lo
	s_delay_alu instid0(VALU_DEP_2) | instskip(NEXT) | instid1(VALU_DEP_2)
	v_add_co_u32 v10, vcc_lo, v10, v16
	v_add_co_ci_u32_e32 v11, vcc_lo, v11, v17, vcc_lo
	s_delay_alu instid0(VALU_DEP_2) | instskip(SKIP_1) | instid1(VALU_DEP_3)
	v_mul_hi_u32 v16, s2, v10
	v_mul_lo_u32 v18, s5, v10
	v_mul_lo_u32 v17, s2, v11
	s_delay_alu instid0(VALU_DEP_1) | instskip(SKIP_1) | instid1(VALU_DEP_2)
	v_add_nc_u32_e32 v16, v16, v17
	v_mul_lo_u32 v17, s2, v10
	v_add_nc_u32_e32 v16, v16, v18
	s_delay_alu instid0(VALU_DEP_2) | instskip(NEXT) | instid1(VALU_DEP_2)
	v_mul_hi_u32 v18, v10, v17
	v_mul_lo_u32 v19, v10, v16
	v_mul_hi_u32 v20, v10, v16
	v_mul_hi_u32 v22, v11, v17
	v_mul_lo_u32 v17, v11, v17
	v_mul_hi_u32 v23, v11, v16
	v_mul_lo_u32 v16, v11, v16
	v_add_co_u32 v18, vcc_lo, v18, v19
	v_add_co_ci_u32_e32 v19, vcc_lo, 0, v20, vcc_lo
	s_delay_alu instid0(VALU_DEP_2) | instskip(NEXT) | instid1(VALU_DEP_2)
	v_add_co_u32 v17, vcc_lo, v18, v17
	v_add_co_ci_u32_e32 v17, vcc_lo, v19, v22, vcc_lo
	v_add_co_ci_u32_e32 v18, vcc_lo, 0, v23, vcc_lo
	v_add_co_u32 v19, vcc_lo, v14, v21
	v_add_co_ci_u32_e32 v20, vcc_lo, v15, v21, vcc_lo
	s_delay_alu instid0(VALU_DEP_4) | instskip(NEXT) | instid1(VALU_DEP_4)
	v_add_co_u32 v16, vcc_lo, v17, v16
	v_add_co_ci_u32_e32 v17, vcc_lo, 0, v18, vcc_lo
	s_delay_alu instid0(VALU_DEP_4) | instskip(NEXT) | instid1(VALU_DEP_3)
	v_xor_b32_e32 v22, v19, v21
	v_add_co_u32 v18, vcc_lo, v10, v16
	s_delay_alu instid0(VALU_DEP_3) | instskip(SKIP_1) | instid1(VALU_DEP_3)
	v_add_co_ci_u32_e32 v23, vcc_lo, v11, v17, vcc_lo
	v_xor_b32_e32 v20, v20, v21
	v_mul_hi_u32 v24, v22, v18
	s_delay_alu instid0(VALU_DEP_3) | instskip(NEXT) | instid1(VALU_DEP_3)
	v_mad_u64_u32 v[10:11], null, v22, v23, 0
	v_mad_u64_u32 v[16:17], null, v20, v18, 0
	;; [unrolled: 1-line block ×3, first 2 shown]
	s_delay_alu instid0(VALU_DEP_3) | instskip(NEXT) | instid1(VALU_DEP_4)
	v_add_co_u32 v10, vcc_lo, v24, v10
	v_add_co_ci_u32_e32 v11, vcc_lo, 0, v11, vcc_lo
	s_delay_alu instid0(VALU_DEP_2) | instskip(NEXT) | instid1(VALU_DEP_2)
	v_add_co_u32 v10, vcc_lo, v10, v16
	v_add_co_ci_u32_e32 v10, vcc_lo, v11, v17, vcc_lo
	v_add_co_ci_u32_e32 v11, vcc_lo, 0, v19, vcc_lo
	s_delay_alu instid0(VALU_DEP_2) | instskip(NEXT) | instid1(VALU_DEP_2)
	v_add_co_u32 v16, vcc_lo, v10, v18
	v_add_co_ci_u32_e32 v17, vcc_lo, 0, v11, vcc_lo
	s_delay_alu instid0(VALU_DEP_2) | instskip(SKIP_1) | instid1(VALU_DEP_3)
	v_mul_lo_u32 v18, s7, v16
	v_mad_u64_u32 v[10:11], null, s6, v16, 0
	v_mul_lo_u32 v19, s6, v17
	s_delay_alu instid0(VALU_DEP_2) | instskip(NEXT) | instid1(VALU_DEP_2)
	v_sub_co_u32 v10, vcc_lo, v22, v10
	v_add3_u32 v11, v11, v19, v18
	s_delay_alu instid0(VALU_DEP_1) | instskip(NEXT) | instid1(VALU_DEP_1)
	v_sub_nc_u32_e32 v18, v20, v11
	v_subrev_co_ci_u32_e64 v18, s2, s7, v18, vcc_lo
	v_add_co_u32 v19, s2, v16, 2
	s_delay_alu instid0(VALU_DEP_1) | instskip(SKIP_3) | instid1(VALU_DEP_3)
	v_add_co_ci_u32_e64 v22, s2, 0, v17, s2
	v_sub_co_u32 v23, s2, v10, s6
	v_sub_co_ci_u32_e32 v11, vcc_lo, v20, v11, vcc_lo
	v_subrev_co_ci_u32_e64 v18, s2, 0, v18, s2
	v_cmp_le_u32_e32 vcc_lo, s6, v23
	s_delay_alu instid0(VALU_DEP_3) | instskip(SKIP_1) | instid1(VALU_DEP_4)
	v_cmp_eq_u32_e64 s2, s7, v11
	v_cndmask_b32_e64 v20, 0, -1, vcc_lo
	v_cmp_le_u32_e32 vcc_lo, s7, v18
	v_cndmask_b32_e64 v23, 0, -1, vcc_lo
	v_cmp_le_u32_e32 vcc_lo, s6, v10
	;; [unrolled: 2-line block ×3, first 2 shown]
	v_cndmask_b32_e64 v24, 0, -1, vcc_lo
	v_cmp_eq_u32_e32 vcc_lo, s7, v18
	s_delay_alu instid0(VALU_DEP_2) | instskip(SKIP_3) | instid1(VALU_DEP_3)
	v_cndmask_b32_e64 v10, v24, v10, s2
	v_cndmask_b32_e32 v18, v23, v20, vcc_lo
	v_add_co_u32 v20, vcc_lo, v16, 1
	v_add_co_ci_u32_e32 v23, vcc_lo, 0, v17, vcc_lo
	v_cmp_ne_u32_e32 vcc_lo, 0, v18
	s_delay_alu instid0(VALU_DEP_2) | instskip(SKIP_2) | instid1(VALU_DEP_3)
	v_dual_cndmask_b32 v11, v23, v22 :: v_dual_cndmask_b32 v18, v20, v19
	v_cmp_ne_u32_e32 vcc_lo, 0, v10
	v_xor_b32_e32 v19, s4, v21
	v_dual_cndmask_b32 v10, v17, v11 :: v_dual_cndmask_b32 v11, v16, v18
	s_delay_alu instid0(VALU_DEP_1) | instskip(NEXT) | instid1(VALU_DEP_2)
	v_xor_b32_e32 v16, v10, v19
	v_xor_b32_e32 v11, v11, v19
	s_delay_alu instid0(VALU_DEP_1) | instskip(NEXT) | instid1(VALU_DEP_3)
	v_sub_co_u32 v10, vcc_lo, v11, v19
	v_sub_co_ci_u32_e32 v11, vcc_lo, v16, v19, vcc_lo
.LBB8_23:
	s_and_not1_saveexec_b32 s2, s3
	s_cbranch_execz .LBB8_25
; %bb.24:
	v_cvt_f32_u32_e32 v10, s40
	s_sub_i32 s3, 0, s40
	s_delay_alu instid0(VALU_DEP_1) | instskip(SKIP_2) | instid1(VALU_DEP_1)
	v_rcp_iflag_f32_e32 v10, v10
	s_waitcnt_depctr 0xfff
	v_mul_f32_e32 v10, 0x4f7ffffe, v10
	v_cvt_u32_f32_e32 v10, v10
	s_delay_alu instid0(VALU_DEP_1) | instskip(NEXT) | instid1(VALU_DEP_1)
	v_mul_lo_u32 v11, s3, v10
	v_mul_hi_u32 v11, v10, v11
	s_delay_alu instid0(VALU_DEP_1) | instskip(NEXT) | instid1(VALU_DEP_1)
	v_add_nc_u32_e32 v10, v10, v11
	v_mul_hi_u32 v10, v14, v10
	s_delay_alu instid0(VALU_DEP_1) | instskip(SKIP_1) | instid1(VALU_DEP_2)
	v_mul_lo_u32 v11, v10, s40
	v_add_nc_u32_e32 v16, 1, v10
	v_sub_nc_u32_e32 v11, v14, v11
	s_delay_alu instid0(VALU_DEP_1) | instskip(SKIP_1) | instid1(VALU_DEP_2)
	v_subrev_nc_u32_e32 v17, s40, v11
	v_cmp_le_u32_e32 vcc_lo, s40, v11
	v_dual_cndmask_b32 v11, v11, v17 :: v_dual_cndmask_b32 v10, v10, v16
	s_delay_alu instid0(VALU_DEP_1) | instskip(NEXT) | instid1(VALU_DEP_2)
	v_cmp_le_u32_e32 vcc_lo, s40, v11
	v_dual_mov_b32 v11, 0 :: v_dual_add_nc_u32 v16, 1, v10
	s_delay_alu instid0(VALU_DEP_1)
	v_cndmask_b32_e32 v10, v10, v16, vcc_lo
.LBB8_25:
	s_or_b32 exec_lo, exec_lo, s2
	v_mul_lo_u32 v18, v3, s22
	v_mul_lo_u32 v19, v2, s23
	v_mad_u64_u32 v[16:17], null, v2, s22, 0
	v_mul_lo_u32 v5, v5, s36
	v_mad_u64_u32 v[48:49], null, v4, s36, 0
	v_mul_lo_u32 v53, v2, s31
	v_mul_lo_u32 v54, v3, s30
	;; [unrolled: 1-line block ×3, first 2 shown]
	v_add3_u32 v17, v17, v19, v18
	v_sub_co_u32 v50, vcc_lo, v12, v16
	v_mul_lo_u32 v56, v1, s38
	s_load_b64 s[2:3], s[0:1], 0x80
	s_delay_alu instid0(VALU_DEP_3) | instskip(NEXT) | instid1(VALU_DEP_3)
	v_sub_co_ci_u32_e32 v16, vcc_lo, v13, v17, vcc_lo
	v_mad_u64_u32 v[12:13], null, v50, s28, s[16:17]
	v_mul_lo_u32 v51, v50, s29
	s_delay_alu instid0(VALU_DEP_3) | instskip(SKIP_2) | instid1(VALU_DEP_2)
	v_mul_lo_u32 v52, v16, s28
	v_mul_lo_u32 v16, v4, s37
	s_mov_b32 s1, 0
	v_add3_u32 v13, v52, v13, v51
	s_delay_alu instid0(VALU_DEP_2) | instskip(NEXT) | instid1(VALU_DEP_2)
	v_add3_u32 v49, v49, v16, v5
	v_mad_u64_u32 v[3:4], null, v2, s30, v[12:13]
	s_delay_alu instid0(VALU_DEP_1) | instskip(NEXT) | instid1(VALU_DEP_2)
	v_add3_u32 v4, v54, v4, v53
	v_add_co_u32 v12, vcc_lo, v3, v48
	s_delay_alu instid0(VALU_DEP_2) | instskip(NEXT) | instid1(VALU_DEP_1)
	v_add_co_ci_u32_e32 v13, vcc_lo, v4, v49, vcc_lo
	v_mad_u64_u32 v[3:4], null, v0, s38, v[12:13]
	v_mov_b32_e32 v13, 0
	s_delay_alu instid0(VALU_DEP_2)
	v_add3_u32 v4, v56, v4, v55
	s_clause 0x7
	global_load_b128 v[16:19], v[3:4], off
	global_load_b128 v[20:23], v[3:4], off offset:16
	global_load_b128 v[24:27], v[3:4], off offset:32
	;; [unrolled: 1-line block ×7, first 2 shown]
	s_waitcnt vmcnt(7)
	v_cmp_lt_f32_e32 vcc_lo, v17, v16
	v_cndmask_b32_e32 v1, v16, v17, vcc_lo
	v_cmp_gt_f32_e32 vcc_lo, v17, v16
	v_cndmask_b32_e32 v5, v16, v17, vcc_lo
	s_delay_alu instid0(VALU_DEP_3) | instskip(SKIP_2) | instid1(VALU_DEP_4)
	v_cmp_lt_f32_e32 vcc_lo, v18, v1
	v_mad_u64_u32 v[16:17], null, v10, s40, 0
	v_cndmask_b32_e32 v1, v1, v18, vcc_lo
	v_cmp_gt_f32_e32 vcc_lo, v18, v5
	s_delay_alu instid0(VALU_DEP_3) | instskip(SKIP_1) | instid1(VALU_DEP_4)
	v_sub_co_u32 v14, s0, v14, v16
	v_cndmask_b32_e32 v5, v5, v18, vcc_lo
	v_cmp_lt_f32_e32 vcc_lo, v19, v1
	v_cndmask_b32_e32 v1, v1, v19, vcc_lo
	s_delay_alu instid0(VALU_DEP_3) | instskip(SKIP_2) | instid1(VALU_DEP_3)
	v_cmp_gt_f32_e32 vcc_lo, v19, v5
	v_cndmask_b32_e32 v5, v5, v19, vcc_lo
	s_waitcnt vmcnt(6)
	v_cmp_lt_f32_e32 vcc_lo, v20, v1
	v_mad_u64_u32 v[18:19], null, v6, s50, 0
	v_cndmask_b32_e32 v1, v1, v20, vcc_lo
	v_cmp_gt_f32_e32 vcc_lo, v20, v5
	v_cndmask_b32_e32 v5, v5, v20, vcc_lo
	s_delay_alu instid0(VALU_DEP_3) | instskip(SKIP_1) | instid1(VALU_DEP_3)
	v_cmp_lt_f32_e32 vcc_lo, v21, v1
	v_cndmask_b32_e32 v1, v1, v21, vcc_lo
	v_cmp_gt_f32_e32 vcc_lo, v21, v5
	v_cndmask_b32_e32 v5, v5, v21, vcc_lo
	s_delay_alu instid0(VALU_DEP_3) | instskip(SKIP_1) | instid1(VALU_DEP_3)
	v_cmp_lt_f32_e32 vcc_lo, v22, v1
	v_cndmask_b32_e32 v1, v1, v22, vcc_lo
	v_cmp_gt_f32_e32 vcc_lo, v22, v5
	v_cndmask_b32_e32 v5, v5, v22, vcc_lo
	s_delay_alu instid0(VALU_DEP_3) | instskip(SKIP_2) | instid1(VALU_DEP_4)
	v_cmp_lt_f32_e32 vcc_lo, v23, v1
	v_mul_lo_u32 v22, v11, s40
	v_cndmask_b32_e32 v1, v1, v23, vcc_lo
	v_cmp_gt_f32_e32 vcc_lo, v23, v5
	v_cndmask_b32_e32 v5, v5, v23, vcc_lo
	s_waitcnt vmcnt(5)
	s_delay_alu instid0(VALU_DEP_3) | instskip(SKIP_4) | instid1(VALU_DEP_3)
	v_cmp_lt_f32_e32 vcc_lo, v24, v1
	v_mul_lo_u32 v23, v10, s41
	v_cndmask_b32_e32 v1, v1, v24, vcc_lo
	v_cmp_gt_f32_e32 vcc_lo, v24, v5
	v_cndmask_b32_e32 v5, v5, v24, vcc_lo
	v_cmp_lt_f32_e32 vcc_lo, v25, v1
	v_cndmask_b32_e32 v1, v1, v25, vcc_lo
	s_delay_alu instid0(VALU_DEP_3) | instskip(SKIP_1) | instid1(VALU_DEP_3)
	v_cmp_gt_f32_e32 vcc_lo, v25, v5
	v_cndmask_b32_e32 v5, v5, v25, vcc_lo
	v_cmp_lt_f32_e32 vcc_lo, v26, v1
	v_mul_lo_u32 v25, v6, s51
	v_add3_u32 v6, v17, v23, v22
	s_waitcnt lgkmcnt(0)
	v_mul_lo_u32 v23, v9, s2
	v_mul_lo_u32 v22, v8, s3
	v_cndmask_b32_e32 v1, v1, v26, vcc_lo
	v_cmp_gt_f32_e32 vcc_lo, v26, v5
	v_sub_co_ci_u32_e64 v15, s0, v15, v6, s0
	v_cndmask_b32_e32 v5, v5, v26, vcc_lo
	s_delay_alu instid0(VALU_DEP_4) | instskip(SKIP_1) | instid1(VALU_DEP_3)
	v_cmp_lt_f32_e32 vcc_lo, v27, v1
	v_cndmask_b32_e32 v1, v1, v27, vcc_lo
	v_cmp_gt_f32_e32 vcc_lo, v27, v5
	v_cndmask_b32_e32 v5, v5, v27, vcc_lo
	s_waitcnt vmcnt(4)
	s_delay_alu instid0(VALU_DEP_3) | instskip(SKIP_1) | instid1(VALU_DEP_3)
	v_cmp_lt_f32_e32 vcc_lo, v28, v1
	v_cndmask_b32_e32 v1, v1, v28, vcc_lo
	v_cmp_gt_f32_e32 vcc_lo, v28, v5
	v_cndmask_b32_e32 v5, v5, v28, vcc_lo
	s_delay_alu instid0(VALU_DEP_3) | instskip(SKIP_1) | instid1(VALU_DEP_3)
	v_cmp_lt_f32_e32 vcc_lo, v29, v1
	v_cndmask_b32_e32 v1, v1, v29, vcc_lo
	v_cmp_gt_f32_e32 vcc_lo, v29, v5
	v_cndmask_b32_e32 v5, v5, v29, vcc_lo
	s_delay_alu instid0(VALU_DEP_3) | instskip(SKIP_1) | instid1(VALU_DEP_3)
	v_cmp_lt_f32_e32 vcc_lo, v30, v1
	v_cndmask_b32_e32 v1, v1, v30, vcc_lo
	v_cmp_gt_f32_e32 vcc_lo, v30, v5
	v_cndmask_b32_e32 v5, v5, v30, vcc_lo
	s_delay_alu instid0(VALU_DEP_3) | instskip(SKIP_1) | instid1(VALU_DEP_3)
	v_cmp_lt_f32_e32 vcc_lo, v31, v1
	v_cndmask_b32_e32 v1, v1, v31, vcc_lo
	v_cmp_gt_f32_e32 vcc_lo, v31, v5
	v_cndmask_b32_e32 v5, v5, v31, vcc_lo
	s_waitcnt vmcnt(3)
	s_delay_alu instid0(VALU_DEP_3) | instskip(SKIP_1) | instid1(VALU_DEP_3)
	v_cmp_lt_f32_e32 vcc_lo, v32, v1
	v_cndmask_b32_e32 v1, v1, v32, vcc_lo
	v_cmp_gt_f32_e32 vcc_lo, v32, v5
	v_cndmask_b32_e32 v5, v5, v32, vcc_lo
	s_delay_alu instid0(VALU_DEP_3) | instskip(SKIP_1) | instid1(VALU_DEP_3)
	v_cmp_lt_f32_e32 vcc_lo, v33, v1
	v_cndmask_b32_e32 v1, v1, v33, vcc_lo
	v_cmp_gt_f32_e32 vcc_lo, v33, v5
	v_cndmask_b32_e32 v5, v5, v33, vcc_lo
	s_delay_alu instid0(VALU_DEP_3) | instskip(SKIP_1) | instid1(VALU_DEP_3)
	v_cmp_lt_f32_e32 vcc_lo, v34, v1
	v_cndmask_b32_e32 v1, v1, v34, vcc_lo
	v_cmp_gt_f32_e32 vcc_lo, v34, v5
	v_cndmask_b32_e32 v5, v5, v34, vcc_lo
	s_delay_alu instid0(VALU_DEP_3) | instskip(SKIP_1) | instid1(VALU_DEP_3)
	;; [unrolled: 21-line block ×5, first 2 shown]
	v_cmp_lt_f32_e32 vcc_lo, v47, v1
	v_cndmask_b32_e32 v12, v1, v47, vcc_lo
	v_cmp_gt_f32_e32 vcc_lo, v47, v5
	v_cndmask_b32_e32 v1, v5, v47, vcc_lo
	s_delay_alu instid0(VALU_DEP_1) | instskip(NEXT) | instid1(VALU_DEP_1)
	v_sub_f32_e32 v20, v1, v12
	v_div_scale_f32 v1, null, 0x41f80000, 0x41f80000, v20
	v_div_scale_f32 v24, vcc_lo, v20, 0x41f80000, v20
	s_delay_alu instid0(VALU_DEP_2) | instskip(SKIP_2) | instid1(VALU_DEP_1)
	v_rcp_f32_e32 v21, v1
	s_waitcnt_depctr 0xfff
	v_fma_f32 v5, -v1, v21, 1.0
	v_fmac_f32_e32 v21, v5, v21
	v_mul_lo_u32 v5, v7, s50
	s_delay_alu instid0(VALU_DEP_2) | instskip(NEXT) | instid1(VALU_DEP_2)
	v_mul_f32_e32 v7, v24, v21
	v_add3_u32 v19, v19, v25, v5
	s_delay_alu instid0(VALU_DEP_2) | instskip(SKIP_3) | instid1(VALU_DEP_4)
	v_fma_f32 v17, -v1, v7, v24
	v_mad_u64_u32 v[5:6], null, v0, s38, v[48:49]
	v_ashrrev_i32_e32 v0, 31, v15
	v_mul_lo_u32 v25, v11, s48
	v_fmac_f32_e32 v7, v17, v21
	v_mov_b32_e32 v11, 0
	s_delay_alu instid0(VALU_DEP_4) | instskip(SKIP_1) | instid1(VALU_DEP_4)
	v_lshrrev_b32_e32 v9, 27, v0
	v_add3_u32 v6, v56, v6, v55
	v_fma_f32 v1, -v1, v7, v24
	s_delay_alu instid0(VALU_DEP_2) | instskip(NEXT) | instid1(VALU_DEP_2)
	v_mad_u64_u32 v[16:17], null, v2, s30, v[5:6]
	v_div_fmas_f32 v7, v1, v21, v7
	v_mad_u64_u32 v[0:1], null, v8, s2, v[18:19]
	v_add_co_u32 v14, vcc_lo, v14, v9
	s_delay_alu instid0(VALU_DEP_3) | instskip(SKIP_3) | instid1(VALU_DEP_4)
	v_div_fixup_f32 v20, v7, 0x41f80000, v20
	v_add_co_ci_u32_e32 v15, vcc_lo, 0, v15, vcc_lo
	v_mul_lo_u32 v2, v10, s49
	v_add3_u32 v1, v23, v1, v22
	v_div_scale_f32 v21, null, v20, v20, 1.0
	s_delay_alu instid0(VALU_DEP_4) | instskip(SKIP_1) | instid1(VALU_DEP_4)
	v_ashrrev_i64 v[5:6], 5, v[14:15]
	v_add3_u32 v17, v54, v17, v53
	v_mad_u64_u32 v[14:15], null, v10, s48, v[0:1]
	s_delay_alu instid0(VALU_DEP_4) | instskip(SKIP_1) | instid1(VALU_DEP_4)
	v_rcp_f32_e32 v24, v21
	v_div_scale_f32 v28, vcc_lo, 1.0, v20, 1.0
	v_mad_u64_u32 v[0:1], null, v5, s46, s[18:19]
	v_mul_lo_u32 v26, v5, s47
	v_mul_lo_u32 v27, v6, s46
	v_mad_u64_u32 v[6:7], null, v50, s28, v[16:17]
	v_add3_u32 v15, v25, v15, v2
	s_delay_alu instid0(TRANS32_DEP_1) | instskip(NEXT) | instid1(VALU_DEP_4)
	v_fma_f32 v9, -v21, v24, 1.0
	v_add3_u32 v1, v27, v1, v26
	s_delay_alu instid0(VALU_DEP_2) | instskip(NEXT) | instid1(VALU_DEP_4)
	v_fmac_f32_e32 v24, v9, v24
	v_mad_u64_u32 v[16:17], null, v5, s46, v[14:15]
	v_add3_u32 v5, v52, v7, v51
	s_delay_alu instid0(VALU_DEP_4) | instskip(NEXT) | instid1(VALU_DEP_4)
	v_mad_u64_u32 v[14:15], null, v10, s48, v[0:1]
	v_mul_f32_e32 v29, v28, v24
	v_add_co_u32 v1, s0, v6, s16
	s_delay_alu instid0(VALU_DEP_1) | instskip(NEXT) | instid1(VALU_DEP_3)
	v_add_co_ci_u32_e64 v6, s0, s17, v5, s0
	v_fma_f32 v0, -v21, v29, v28
	s_delay_alu instid0(VALU_DEP_3) | instskip(NEXT) | instid1(VALU_DEP_1)
	v_add_co_u32 v5, s0, v1, 64
	v_add_co_ci_u32_e64 v6, s0, 0, v6, s0
	s_delay_alu instid0(VALU_DEP_3) | instskip(SKIP_3) | instid1(VALU_DEP_4)
	v_fmac_f32_e32 v29, v0, v24
	v_add3_u32 v0, v25, v15, v2
	v_add_co_u32 v14, s0, v14, v18
	v_add3_u32 v7, v27, v17, v26
	v_fma_f32 v1, -v21, v29, v28
	s_delay_alu instid0(VALU_DEP_4) | instskip(SKIP_2) | instid1(VALU_DEP_4)
	v_add_co_ci_u32_e64 v15, s0, v0, v19, s0
	v_cvt_f16_f32_e32 v10, v20
	v_mov_b32_e32 v9, 0
	v_div_fmas_f32 v2, v1, v24, v29
	s_delay_alu instid0(VALU_DEP_4) | instskip(SKIP_2) | instid1(VALU_DEP_3)
	v_mad_u64_u32 v[0:1], null, v8, s2, v[14:15]
	v_cvt_f16_f32_e32 v8, v12
	s_mov_b64 s[2:3], 0
	v_div_fixup_f32 v14, v2, v20, 1.0
	v_add_co_u32 v2, vcc_lo, s18, v16
	v_add_co_ci_u32_e32 v7, vcc_lo, s19, v7, vcc_lo
	v_cmp_neq_f32_e32 vcc_lo, 0, v20
	v_add3_u32 v1, v23, v1, v22
	v_pack_b32_f16 v15, v10, v8
	v_mov_b32_e32 v10, 0
	v_cndmask_b32_e32 v8, 0, v14, vcc_lo
	global_store_b32 v[0:1], v15, off
.LBB8_26:                               ; =>This Inner Loop Header: Depth=1
	s_clause 0x1
	global_load_b64 v[14:15], v[5:6], off offset:-64
	global_load_b32 v18, v[5:6], off
	s_or_b32 s0, s2, 17
	v_lshlrev_b32_e32 v9, 16, v9
	s_lshl_b64 s[4:5], s[0:1], 2
	v_and_b32_e32 v13, 0xff, v13
	v_add_co_u32 v16, vcc_lo, v3, s4
	v_add_co_ci_u32_e32 v17, vcc_lo, s5, v4, vcc_lo
	v_perm_b32 v9, v10, v9, 0x4020c0c
	s_add_i32 s4, s2, 16
	s_add_i32 s5, s2, 1
	global_load_b32 v19, v[16:17], off
	v_lshlrev_b32_e32 v11, 8, v11
	v_add_co_u32 v16, vcc_lo, v2, s2
	v_add_co_ci_u32_e32 v17, vcc_lo, s3, v7, vcc_lo
	s_delay_alu instid0(VALU_DEP_3)
	v_and_b32_e32 v10, 0xff00, v11
	v_add_co_u32 v5, vcc_lo, v5, 8
	v_add_co_ci_u32_e32 v6, vcc_lo, 0, v6, vcc_lo
	s_waitcnt vmcnt(1)
	v_sub_f32_e32 v11, v18, v12
	v_or3_b32 v9, v9, v10, v13
	v_sub_f32_e32 v10, v14, v12
	s_delay_alu instid0(VALU_DEP_3) | instskip(NEXT) | instid1(VALU_DEP_2)
	v_fma_f32 v11, v8, v11, 0.5
	v_fma_f32 v10, v8, v10, 0.5
	s_delay_alu instid0(VALU_DEP_2) | instskip(NEXT) | instid1(VALU_DEP_2)
	v_cvt_i32_f32_e32 v11, v11
	v_cvt_i32_f32_e32 v10, v10
	v_sub_f32_e32 v13, v15, v12
	s_waitcnt vmcnt(0)
	v_sub_f32_e32 v14, v19, v12
	v_lshrrev_b16 v18, 4, v11
	v_lshlrev_b16 v11, 4, v11
	v_lshrrev_b16 v15, 4, v10
	v_and_b32_e32 v10, 15, v10
	v_fma_f32 v13, v8, v13, 0.5
	v_fma_f32 v14, v8, v14, 0.5
	v_and_b32_e32 v18, 1, v18
	v_and_b32_e32 v15, 1, v15
	v_or_b32_e32 v10, v11, v10
	v_cvt_i32_f32_e32 v13, v13
	v_cvt_i32_f32_e32 v14, v14
	v_and_b32_e32 v18, 0xffff, v18
	v_and_b32_e32 v15, 0xffff, v15
	s_delay_alu instid0(VALU_DEP_4) | instskip(SKIP_2) | instid1(VALU_DEP_4)
	v_and_b32_e32 v19, 15, v13
	v_lshrrev_b16 v13, 4, v13
	v_lshrrev_b16 v20, 4, v14
	v_lshlrev_b32_e32 v15, s2, v15
	v_lshlrev_b32_e32 v18, s4, v18
	v_lshlrev_b16 v14, 12, v14
	v_and_b32_e32 v13, 1, v13
	s_add_u32 s2, s2, 2
	s_addc_u32 s3, s3, 0
	v_or3_b32 v9, v15, v9, v18
	v_lshlrev_b16 v15, 8, v19
	v_and_b32_e32 v11, 0xffff, v13
	v_and_b32_e32 v13, 1, v20
	s_cmp_lg_u32 s2, 16
	s_delay_alu instid0(VALU_DEP_1) | instskip(NEXT) | instid1(VALU_DEP_3)
	v_and_b32_e32 v18, 0xffff, v13
	v_lshl_or_b32 v13, v11, s5, v9
	v_and_b32_e32 v9, 0xff, v10
	v_or_b32_e32 v10, v14, v15
	s_delay_alu instid0(VALU_DEP_3) | instskip(SKIP_1) | instid1(VALU_DEP_3)
	v_lshl_or_b32 v14, v18, s0, v13
	v_lshrrev_b32_e32 v11, 8, v13
	v_or_b32_e32 v15, v9, v10
	s_delay_alu instid0(VALU_DEP_3)
	v_lshrrev_b32_e32 v9, 16, v14
	v_lshrrev_b32_e32 v10, 24, v14
	global_store_b16 v[16:17], v15, off offset:8
	s_cbranch_scc1 .LBB8_26
; %bb.27:
	v_lshlrev_b16 v2, 8, v11
	v_and_b32_e32 v3, 0xff, v13
	v_lshlrev_b16 v4, 8, v10
	v_and_b32_e32 v5, 0xff, v9
	s_delay_alu instid0(VALU_DEP_3) | instskip(NEXT) | instid1(VALU_DEP_2)
	v_or_b32_e32 v2, v3, v2
	v_or_b32_e32 v3, v5, v4
	s_delay_alu instid0(VALU_DEP_2) | instskip(NEXT) | instid1(VALU_DEP_2)
	v_and_b32_e32 v2, 0xffff, v2
	v_lshlrev_b32_e32 v3, 16, v3
	s_delay_alu instid0(VALU_DEP_1)
	v_or_b32_e32 v2, v2, v3
	global_store_b32 v[0:1], v2, off offset:4
.LBB8_28:
	s_nop 0
	s_sendmsg sendmsg(MSG_DEALLOC_VGPRS)
	s_endpgm
	.section	.rodata,"a",@progbits
	.p2align	6, 0x0
	.amdhsa_kernel _ZL9cpy_f32_qIXadL_ZL17cpy_blck_f32_q5_1PKcPcEELi32EEvS1_S2_lllllllllllllll
		.amdhsa_group_segment_fixed_size 0
		.amdhsa_private_segment_fixed_size 0
		.amdhsa_kernarg_size 392
		.amdhsa_user_sgpr_count 15
		.amdhsa_user_sgpr_dispatch_ptr 0
		.amdhsa_user_sgpr_queue_ptr 0
		.amdhsa_user_sgpr_kernarg_segment_ptr 1
		.amdhsa_user_sgpr_dispatch_id 0
		.amdhsa_user_sgpr_private_segment_size 0
		.amdhsa_wavefront_size32 1
		.amdhsa_uses_dynamic_stack 0
		.amdhsa_enable_private_segment 0
		.amdhsa_system_sgpr_workgroup_id_x 1
		.amdhsa_system_sgpr_workgroup_id_y 0
		.amdhsa_system_sgpr_workgroup_id_z 0
		.amdhsa_system_sgpr_workgroup_info 0
		.amdhsa_system_vgpr_workitem_id 0
		.amdhsa_next_free_vgpr 57
		.amdhsa_next_free_sgpr 52
		.amdhsa_reserve_vcc 1
		.amdhsa_float_round_mode_32 0
		.amdhsa_float_round_mode_16_64 0
		.amdhsa_float_denorm_mode_32 3
		.amdhsa_float_denorm_mode_16_64 3
		.amdhsa_dx10_clamp 1
		.amdhsa_ieee_mode 1
		.amdhsa_fp16_overflow 0
		.amdhsa_workgroup_processor_mode 1
		.amdhsa_memory_ordered 1
		.amdhsa_forward_progress 0
		.amdhsa_shared_vgpr_count 0
		.amdhsa_exception_fp_ieee_invalid_op 0
		.amdhsa_exception_fp_denorm_src 0
		.amdhsa_exception_fp_ieee_div_zero 0
		.amdhsa_exception_fp_ieee_overflow 0
		.amdhsa_exception_fp_ieee_underflow 0
		.amdhsa_exception_fp_ieee_inexact 0
		.amdhsa_exception_int_div_zero 0
	.end_amdhsa_kernel
	.section	.text._ZL9cpy_f32_qIXadL_ZL17cpy_blck_f32_q5_1PKcPcEELi32EEvS1_S2_lllllllllllllll,"axG",@progbits,_ZL9cpy_f32_qIXadL_ZL17cpy_blck_f32_q5_1PKcPcEELi32EEvS1_S2_lllllllllllllll,comdat
.Lfunc_end8:
	.size	_ZL9cpy_f32_qIXadL_ZL17cpy_blck_f32_q5_1PKcPcEELi32EEvS1_S2_lllllllllllllll, .Lfunc_end8-_ZL9cpy_f32_qIXadL_ZL17cpy_blck_f32_q5_1PKcPcEELi32EEvS1_S2_lllllllllllllll
                                        ; -- End function
	.section	.AMDGPU.csdata,"",@progbits
; Kernel info:
; codeLenInByte = 8420
; NumSgprs: 54
; NumVgprs: 57
; ScratchSize: 0
; MemoryBound: 0
; FloatMode: 240
; IeeeMode: 1
; LDSByteSize: 0 bytes/workgroup (compile time only)
; SGPRBlocks: 6
; VGPRBlocks: 7
; NumSGPRsForWavesPerEU: 54
; NumVGPRsForWavesPerEU: 57
; Occupancy: 16
; WaveLimiterHint : 0
; COMPUTE_PGM_RSRC2:SCRATCH_EN: 0
; COMPUTE_PGM_RSRC2:USER_SGPR: 15
; COMPUTE_PGM_RSRC2:TRAP_HANDLER: 0
; COMPUTE_PGM_RSRC2:TGID_X_EN: 1
; COMPUTE_PGM_RSRC2:TGID_Y_EN: 0
; COMPUTE_PGM_RSRC2:TGID_Z_EN: 0
; COMPUTE_PGM_RSRC2:TIDIG_COMP_CNT: 0
	.section	.text._ZL9cpy_q_f32IXadL_ZL14cpy_blck_q_f32IXadL_ZL15dequantize_q5_1PKvliR15HIP_vector_typeIfLj2EEEELi32EEvPKcPcEELi32EEvS7_S8_lllllllllllllll,"axG",@progbits,_ZL9cpy_q_f32IXadL_ZL14cpy_blck_q_f32IXadL_ZL15dequantize_q5_1PKvliR15HIP_vector_typeIfLj2EEEELi32EEvPKcPcEELi32EEvS7_S8_lllllllllllllll,comdat
	.globl	_ZL9cpy_q_f32IXadL_ZL14cpy_blck_q_f32IXadL_ZL15dequantize_q5_1PKvliR15HIP_vector_typeIfLj2EEEELi32EEvPKcPcEELi32EEvS7_S8_lllllllllllllll ; -- Begin function _ZL9cpy_q_f32IXadL_ZL14cpy_blck_q_f32IXadL_ZL15dequantize_q5_1PKvliR15HIP_vector_typeIfLj2EEEELi32EEvPKcPcEELi32EEvS7_S8_lllllllllllllll
	.p2align	8
	.type	_ZL9cpy_q_f32IXadL_ZL14cpy_blck_q_f32IXadL_ZL15dequantize_q5_1PKvliR15HIP_vector_typeIfLj2EEEELi32EEvPKcPcEELi32EEvS7_S8_lllllllllllllll,@function
_ZL9cpy_q_f32IXadL_ZL14cpy_blck_q_f32IXadL_ZL15dequantize_q5_1PKvliR15HIP_vector_typeIfLj2EEEELi32EEvPKcPcEELi32EEvS7_S8_lllllllllllllll: ; @_ZL9cpy_q_f32IXadL_ZL14cpy_blck_q_f32IXadL_ZL15dequantize_q5_1PKvliR15HIP_vector_typeIfLj2EEEELi32EEvPKcPcEELi32EEvS7_S8_lllllllllllllll
; %bb.0:
	s_load_b32 s2, s[0:1], 0x94
	v_mov_b32_e32 v2, 0
	s_load_b512 s[16:31], s[0:1], 0x0
	s_delay_alu instid0(VALU_DEP_1)
	v_mov_b32_e32 v1, v2
	s_waitcnt lgkmcnt(0)
	s_and_b32 s2, s2, 0xffff
	s_delay_alu instid0(VALU_DEP_1) | instid1(SALU_CYCLE_1)
	v_mad_u64_u32 v[3:4], null, s2, s15, v[0:1]
	s_mov_b32 s2, exec_lo
	s_delay_alu instid0(VALU_DEP_1) | instskip(NEXT) | instid1(VALU_DEP_1)
	v_lshlrev_b64 v[4:5], 5, v[3:4]
	v_cmpx_gt_i64_e64 s[20:21], v[4:5]
	s_cbranch_execz .LBB9_26
; %bb.1:
	s_mul_i32 s2, s24, s23
	s_mul_hi_u32 s3, s24, s22
                                        ; implicit-def: $vgpr0_vgpr1
	s_delay_alu instid0(SALU_CYCLE_1)
	s_add_i32 s8, s3, s2
	s_mul_i32 s3, s24, s22
	s_mul_i32 s2, s25, s22
	;; [unrolled: 1-line block ×3, first 2 shown]
	s_mul_hi_u32 s5, s3, s26
	s_add_i32 s8, s8, s2
	s_add_i32 s2, s5, s4
	s_mul_i32 s4, s8, s26
	s_mul_i32 s10, s3, s26
	s_add_i32 s9, s2, s4
	s_mov_b32 s2, exec_lo
	v_or_b32_e32 v3, s9, v5
	s_delay_alu instid0(VALU_DEP_1)
	v_cmpx_ne_u64_e32 0, v[2:3]
	s_xor_b32 s11, exec_lo, s2
	s_cbranch_execz .LBB9_3
; %bb.2:
	s_ashr_i32 s4, s9, 31
	s_delay_alu instid0(SALU_CYCLE_1) | instskip(SKIP_2) | instid1(SALU_CYCLE_1)
	s_add_u32 s6, s10, s4
	s_mov_b32 s5, s4
	s_addc_u32 s7, s9, s4
	s_xor_b64 s[6:7], s[6:7], s[4:5]
	s_delay_alu instid0(SALU_CYCLE_1) | instskip(SKIP_3) | instid1(VALU_DEP_1)
	v_cvt_f32_u32_e32 v0, s6
	v_cvt_f32_u32_e32 v1, s7
	s_sub_u32 s2, 0, s6
	s_subb_u32 s5, 0, s7
	v_fmamk_f32 v0, v1, 0x4f800000, v0
	s_delay_alu instid0(VALU_DEP_1) | instskip(SKIP_2) | instid1(VALU_DEP_1)
	v_rcp_f32_e32 v0, v0
	s_waitcnt_depctr 0xfff
	v_mul_f32_e32 v0, 0x5f7ffffc, v0
	v_mul_f32_e32 v1, 0x2f800000, v0
	s_delay_alu instid0(VALU_DEP_1) | instskip(NEXT) | instid1(VALU_DEP_1)
	v_trunc_f32_e32 v1, v1
	v_fmamk_f32 v0, v1, 0xcf800000, v0
	v_cvt_u32_f32_e32 v1, v1
	s_delay_alu instid0(VALU_DEP_2) | instskip(NEXT) | instid1(VALU_DEP_2)
	v_cvt_u32_f32_e32 v0, v0
	v_mul_lo_u32 v2, s2, v1
	s_delay_alu instid0(VALU_DEP_2) | instskip(SKIP_1) | instid1(VALU_DEP_2)
	v_mul_hi_u32 v3, s2, v0
	v_mul_lo_u32 v6, s5, v0
	v_add_nc_u32_e32 v2, v3, v2
	v_mul_lo_u32 v3, s2, v0
	s_delay_alu instid0(VALU_DEP_2) | instskip(NEXT) | instid1(VALU_DEP_2)
	v_add_nc_u32_e32 v2, v2, v6
	v_mul_hi_u32 v6, v0, v3
	s_delay_alu instid0(VALU_DEP_2)
	v_mul_lo_u32 v7, v0, v2
	v_mul_hi_u32 v8, v0, v2
	v_mul_hi_u32 v9, v1, v3
	v_mul_lo_u32 v3, v1, v3
	v_mul_hi_u32 v10, v1, v2
	v_mul_lo_u32 v2, v1, v2
	v_add_co_u32 v6, vcc_lo, v6, v7
	v_add_co_ci_u32_e32 v7, vcc_lo, 0, v8, vcc_lo
	s_delay_alu instid0(VALU_DEP_2) | instskip(NEXT) | instid1(VALU_DEP_2)
	v_add_co_u32 v3, vcc_lo, v6, v3
	v_add_co_ci_u32_e32 v3, vcc_lo, v7, v9, vcc_lo
	v_add_co_ci_u32_e32 v6, vcc_lo, 0, v10, vcc_lo
	s_delay_alu instid0(VALU_DEP_2) | instskip(NEXT) | instid1(VALU_DEP_2)
	v_add_co_u32 v2, vcc_lo, v3, v2
	v_add_co_ci_u32_e32 v3, vcc_lo, 0, v6, vcc_lo
	s_delay_alu instid0(VALU_DEP_2) | instskip(NEXT) | instid1(VALU_DEP_2)
	v_add_co_u32 v0, vcc_lo, v0, v2
	v_add_co_ci_u32_e32 v1, vcc_lo, v1, v3, vcc_lo
	s_delay_alu instid0(VALU_DEP_2) | instskip(SKIP_1) | instid1(VALU_DEP_3)
	v_mul_hi_u32 v2, s2, v0
	v_mul_lo_u32 v6, s5, v0
	v_mul_lo_u32 v3, s2, v1
	s_delay_alu instid0(VALU_DEP_1) | instskip(SKIP_1) | instid1(VALU_DEP_2)
	v_add_nc_u32_e32 v2, v2, v3
	v_mul_lo_u32 v3, s2, v0
	v_add_nc_u32_e32 v2, v2, v6
	s_delay_alu instid0(VALU_DEP_2) | instskip(NEXT) | instid1(VALU_DEP_2)
	v_mul_hi_u32 v6, v0, v3
	v_mul_lo_u32 v7, v0, v2
	v_mul_hi_u32 v8, v0, v2
	v_mul_hi_u32 v9, v1, v3
	v_mul_lo_u32 v3, v1, v3
	v_mul_hi_u32 v10, v1, v2
	v_mul_lo_u32 v2, v1, v2
	v_add_co_u32 v6, vcc_lo, v6, v7
	v_add_co_ci_u32_e32 v7, vcc_lo, 0, v8, vcc_lo
	s_delay_alu instid0(VALU_DEP_2) | instskip(NEXT) | instid1(VALU_DEP_2)
	v_add_co_u32 v3, vcc_lo, v6, v3
	v_add_co_ci_u32_e32 v3, vcc_lo, v7, v9, vcc_lo
	v_add_co_ci_u32_e32 v6, vcc_lo, 0, v10, vcc_lo
	s_delay_alu instid0(VALU_DEP_2) | instskip(NEXT) | instid1(VALU_DEP_2)
	v_add_co_u32 v2, vcc_lo, v3, v2
	v_add_co_ci_u32_e32 v3, vcc_lo, 0, v6, vcc_lo
	s_delay_alu instid0(VALU_DEP_2) | instskip(NEXT) | instid1(VALU_DEP_2)
	v_add_co_u32 v6, vcc_lo, v0, v2
	v_add_co_ci_u32_e32 v8, vcc_lo, v1, v3, vcc_lo
	s_delay_alu instid0(VALU_DEP_2) | instskip(SKIP_1) | instid1(VALU_DEP_3)
	v_mul_hi_u32 v9, v4, v6
	v_mad_u64_u32 v[2:3], null, v5, v6, 0
	v_mad_u64_u32 v[0:1], null, v4, v8, 0
	;; [unrolled: 1-line block ×3, first 2 shown]
	s_delay_alu instid0(VALU_DEP_2) | instskip(NEXT) | instid1(VALU_DEP_3)
	v_add_co_u32 v0, vcc_lo, v9, v0
	v_add_co_ci_u32_e32 v1, vcc_lo, 0, v1, vcc_lo
	s_delay_alu instid0(VALU_DEP_2) | instskip(NEXT) | instid1(VALU_DEP_2)
	v_add_co_u32 v0, vcc_lo, v0, v2
	v_add_co_ci_u32_e32 v0, vcc_lo, v1, v3, vcc_lo
	v_add_co_ci_u32_e32 v1, vcc_lo, 0, v7, vcc_lo
	s_delay_alu instid0(VALU_DEP_2) | instskip(NEXT) | instid1(VALU_DEP_2)
	v_add_co_u32 v2, vcc_lo, v0, v6
	v_add_co_ci_u32_e32 v3, vcc_lo, 0, v1, vcc_lo
	s_delay_alu instid0(VALU_DEP_2) | instskip(SKIP_1) | instid1(VALU_DEP_3)
	v_mul_lo_u32 v6, s7, v2
	v_mad_u64_u32 v[0:1], null, s6, v2, 0
	v_mul_lo_u32 v7, s6, v3
	s_delay_alu instid0(VALU_DEP_2) | instskip(NEXT) | instid1(VALU_DEP_2)
	v_sub_co_u32 v0, vcc_lo, v4, v0
	v_add3_u32 v1, v1, v7, v6
	s_delay_alu instid0(VALU_DEP_1) | instskip(NEXT) | instid1(VALU_DEP_1)
	v_sub_nc_u32_e32 v6, v5, v1
	v_subrev_co_ci_u32_e64 v6, s2, s7, v6, vcc_lo
	v_add_co_u32 v7, s2, v2, 2
	s_delay_alu instid0(VALU_DEP_1) | instskip(SKIP_3) | instid1(VALU_DEP_3)
	v_add_co_ci_u32_e64 v8, s2, 0, v3, s2
	v_sub_co_u32 v9, s2, v0, s6
	v_sub_co_ci_u32_e32 v1, vcc_lo, v5, v1, vcc_lo
	v_subrev_co_ci_u32_e64 v6, s2, 0, v6, s2
	v_cmp_le_u32_e32 vcc_lo, s6, v9
	s_delay_alu instid0(VALU_DEP_3) | instskip(SKIP_1) | instid1(VALU_DEP_4)
	v_cmp_eq_u32_e64 s2, s7, v1
	v_cndmask_b32_e64 v9, 0, -1, vcc_lo
	v_cmp_le_u32_e32 vcc_lo, s7, v6
	v_cndmask_b32_e64 v10, 0, -1, vcc_lo
	v_cmp_le_u32_e32 vcc_lo, s6, v0
	;; [unrolled: 2-line block ×3, first 2 shown]
	v_cndmask_b32_e64 v11, 0, -1, vcc_lo
	v_cmp_eq_u32_e32 vcc_lo, s7, v6
	s_delay_alu instid0(VALU_DEP_2) | instskip(SKIP_3) | instid1(VALU_DEP_3)
	v_cndmask_b32_e64 v0, v11, v0, s2
	v_cndmask_b32_e32 v6, v10, v9, vcc_lo
	v_add_co_u32 v9, vcc_lo, v2, 1
	v_add_co_ci_u32_e32 v10, vcc_lo, 0, v3, vcc_lo
	v_cmp_ne_u32_e32 vcc_lo, 0, v6
	s_delay_alu instid0(VALU_DEP_2) | instskip(SKIP_1) | instid1(VALU_DEP_2)
	v_dual_cndmask_b32 v1, v10, v8 :: v_dual_cndmask_b32 v6, v9, v7
	v_cmp_ne_u32_e32 vcc_lo, 0, v0
	v_dual_cndmask_b32 v0, v3, v1 :: v_dual_cndmask_b32 v1, v2, v6
	s_delay_alu instid0(VALU_DEP_1) | instskip(NEXT) | instid1(VALU_DEP_2)
	v_xor_b32_e32 v2, s4, v0
	v_xor_b32_e32 v1, s4, v1
	s_delay_alu instid0(VALU_DEP_1) | instskip(NEXT) | instid1(VALU_DEP_3)
	v_sub_co_u32 v0, vcc_lo, v1, s4
	v_subrev_co_ci_u32_e32 v1, vcc_lo, s4, v2, vcc_lo
.LBB9_3:
	s_and_not1_saveexec_b32 s2, s11
	s_cbranch_execz .LBB9_5
; %bb.4:
	v_cvt_f32_u32_e32 v0, s10
	s_sub_i32 s4, 0, s10
	s_delay_alu instid0(VALU_DEP_1) | instskip(SKIP_2) | instid1(VALU_DEP_1)
	v_rcp_iflag_f32_e32 v0, v0
	s_waitcnt_depctr 0xfff
	v_mul_f32_e32 v0, 0x4f7ffffe, v0
	v_cvt_u32_f32_e32 v0, v0
	s_delay_alu instid0(VALU_DEP_1) | instskip(NEXT) | instid1(VALU_DEP_1)
	v_mul_lo_u32 v1, s4, v0
	v_mul_hi_u32 v1, v0, v1
	s_delay_alu instid0(VALU_DEP_1) | instskip(NEXT) | instid1(VALU_DEP_1)
	v_add_nc_u32_e32 v0, v0, v1
	v_mul_hi_u32 v0, v4, v0
	s_delay_alu instid0(VALU_DEP_1) | instskip(SKIP_1) | instid1(VALU_DEP_2)
	v_mul_lo_u32 v1, v0, s10
	v_add_nc_u32_e32 v2, 1, v0
	v_sub_nc_u32_e32 v1, v4, v1
	s_delay_alu instid0(VALU_DEP_1) | instskip(SKIP_1) | instid1(VALU_DEP_2)
	v_subrev_nc_u32_e32 v3, s10, v1
	v_cmp_le_u32_e32 vcc_lo, s10, v1
	v_dual_cndmask_b32 v1, v1, v3 :: v_dual_cndmask_b32 v0, v0, v2
	s_delay_alu instid0(VALU_DEP_1) | instskip(NEXT) | instid1(VALU_DEP_2)
	v_cmp_le_u32_e32 vcc_lo, s10, v1
	v_dual_mov_b32 v1, 0 :: v_dual_add_nc_u32 v2, 1, v0
	s_delay_alu instid0(VALU_DEP_1)
	v_cndmask_b32_e32 v0, v0, v2, vcc_lo
.LBB9_5:
	s_or_b32 exec_lo, exec_lo, s2
	s_delay_alu instid0(VALU_DEP_1) | instskip(NEXT) | instid1(VALU_DEP_2)
	v_mul_lo_u32 v6, s9, v0
	v_mul_lo_u32 v7, s10, v1
	v_mad_u64_u32 v[2:3], null, s10, v0, 0
	s_delay_alu instid0(VALU_DEP_1) | instskip(NEXT) | instid1(VALU_DEP_2)
	v_add3_u32 v3, v3, v7, v6
	v_sub_co_u32 v6, vcc_lo, v4, v2
	v_mov_b32_e32 v2, 0
	s_delay_alu instid0(VALU_DEP_3) | instskip(NEXT) | instid1(VALU_DEP_1)
	v_sub_co_ci_u32_e32 v7, vcc_lo, v5, v3, vcc_lo
	v_or_b32_e32 v3, s8, v7
	s_delay_alu instid0(VALU_DEP_1) | instskip(SKIP_1) | instid1(SALU_CYCLE_1)
	v_cmp_ne_u64_e32 vcc_lo, 0, v[2:3]
                                        ; implicit-def: $vgpr2_vgpr3
	s_and_saveexec_b32 s2, vcc_lo
	s_xor_b32 s9, exec_lo, s2
	s_cbranch_execz .LBB9_7
; %bb.6:
	s_ashr_i32 s4, s8, 31
	s_delay_alu instid0(SALU_CYCLE_1) | instskip(SKIP_2) | instid1(SALU_CYCLE_1)
	s_add_u32 s6, s3, s4
	s_mov_b32 s5, s4
	s_addc_u32 s7, s8, s4
	s_xor_b64 s[6:7], s[6:7], s[4:5]
	s_delay_alu instid0(SALU_CYCLE_1) | instskip(SKIP_3) | instid1(VALU_DEP_1)
	v_cvt_f32_u32_e32 v2, s6
	v_cvt_f32_u32_e32 v3, s7
	s_sub_u32 s2, 0, s6
	s_subb_u32 s5, 0, s7
	v_fmamk_f32 v2, v3, 0x4f800000, v2
	s_delay_alu instid0(VALU_DEP_1) | instskip(SKIP_2) | instid1(VALU_DEP_1)
	v_rcp_f32_e32 v2, v2
	s_waitcnt_depctr 0xfff
	v_mul_f32_e32 v2, 0x5f7ffffc, v2
	v_mul_f32_e32 v3, 0x2f800000, v2
	s_delay_alu instid0(VALU_DEP_1) | instskip(NEXT) | instid1(VALU_DEP_1)
	v_trunc_f32_e32 v3, v3
	v_fmamk_f32 v2, v3, 0xcf800000, v2
	v_cvt_u32_f32_e32 v3, v3
	s_delay_alu instid0(VALU_DEP_2) | instskip(NEXT) | instid1(VALU_DEP_2)
	v_cvt_u32_f32_e32 v2, v2
	v_mul_lo_u32 v8, s2, v3
	s_delay_alu instid0(VALU_DEP_2) | instskip(SKIP_1) | instid1(VALU_DEP_2)
	v_mul_hi_u32 v9, s2, v2
	v_mul_lo_u32 v10, s5, v2
	v_add_nc_u32_e32 v8, v9, v8
	v_mul_lo_u32 v9, s2, v2
	s_delay_alu instid0(VALU_DEP_2) | instskip(NEXT) | instid1(VALU_DEP_2)
	v_add_nc_u32_e32 v8, v8, v10
	v_mul_hi_u32 v10, v2, v9
	s_delay_alu instid0(VALU_DEP_2)
	v_mul_lo_u32 v11, v2, v8
	v_mul_hi_u32 v12, v2, v8
	v_mul_hi_u32 v13, v3, v9
	v_mul_lo_u32 v9, v3, v9
	v_mul_hi_u32 v14, v3, v8
	v_mul_lo_u32 v8, v3, v8
	v_add_co_u32 v10, vcc_lo, v10, v11
	v_add_co_ci_u32_e32 v11, vcc_lo, 0, v12, vcc_lo
	s_delay_alu instid0(VALU_DEP_2) | instskip(NEXT) | instid1(VALU_DEP_2)
	v_add_co_u32 v9, vcc_lo, v10, v9
	v_add_co_ci_u32_e32 v9, vcc_lo, v11, v13, vcc_lo
	v_add_co_ci_u32_e32 v10, vcc_lo, 0, v14, vcc_lo
	v_ashrrev_i32_e32 v13, 31, v7
	s_delay_alu instid0(VALU_DEP_3) | instskip(NEXT) | instid1(VALU_DEP_3)
	v_add_co_u32 v8, vcc_lo, v9, v8
	v_add_co_ci_u32_e32 v9, vcc_lo, 0, v10, vcc_lo
	s_delay_alu instid0(VALU_DEP_2) | instskip(NEXT) | instid1(VALU_DEP_2)
	v_add_co_u32 v2, vcc_lo, v2, v8
	v_add_co_ci_u32_e32 v3, vcc_lo, v3, v9, vcc_lo
	s_delay_alu instid0(VALU_DEP_2) | instskip(SKIP_1) | instid1(VALU_DEP_3)
	v_mul_hi_u32 v8, s2, v2
	v_mul_lo_u32 v10, s5, v2
	v_mul_lo_u32 v9, s2, v3
	s_delay_alu instid0(VALU_DEP_1) | instskip(SKIP_1) | instid1(VALU_DEP_2)
	v_add_nc_u32_e32 v8, v8, v9
	v_mul_lo_u32 v9, s2, v2
	v_add_nc_u32_e32 v8, v8, v10
	s_delay_alu instid0(VALU_DEP_2) | instskip(NEXT) | instid1(VALU_DEP_2)
	v_mul_hi_u32 v10, v2, v9
	v_mul_lo_u32 v11, v2, v8
	v_mul_hi_u32 v12, v2, v8
	v_mul_hi_u32 v14, v3, v9
	v_mul_lo_u32 v9, v3, v9
	v_mul_hi_u32 v15, v3, v8
	v_mul_lo_u32 v8, v3, v8
	v_add_co_u32 v10, vcc_lo, v10, v11
	v_add_co_ci_u32_e32 v11, vcc_lo, 0, v12, vcc_lo
	s_delay_alu instid0(VALU_DEP_2) | instskip(NEXT) | instid1(VALU_DEP_2)
	v_add_co_u32 v9, vcc_lo, v10, v9
	v_add_co_ci_u32_e32 v9, vcc_lo, v11, v14, vcc_lo
	v_add_co_ci_u32_e32 v10, vcc_lo, 0, v15, vcc_lo
	v_add_co_u32 v11, vcc_lo, v6, v13
	v_add_co_ci_u32_e32 v12, vcc_lo, v7, v13, vcc_lo
	s_delay_alu instid0(VALU_DEP_4) | instskip(NEXT) | instid1(VALU_DEP_4)
	v_add_co_u32 v8, vcc_lo, v9, v8
	v_add_co_ci_u32_e32 v9, vcc_lo, 0, v10, vcc_lo
	s_delay_alu instid0(VALU_DEP_4) | instskip(NEXT) | instid1(VALU_DEP_3)
	v_xor_b32_e32 v14, v11, v13
	v_add_co_u32 v10, vcc_lo, v2, v8
	s_delay_alu instid0(VALU_DEP_3) | instskip(SKIP_1) | instid1(VALU_DEP_3)
	v_add_co_ci_u32_e32 v15, vcc_lo, v3, v9, vcc_lo
	v_xor_b32_e32 v12, v12, v13
	v_mul_hi_u32 v16, v14, v10
	s_delay_alu instid0(VALU_DEP_3) | instskip(NEXT) | instid1(VALU_DEP_3)
	v_mad_u64_u32 v[2:3], null, v14, v15, 0
	v_mad_u64_u32 v[8:9], null, v12, v10, 0
	v_mad_u64_u32 v[10:11], null, v12, v15, 0
	s_delay_alu instid0(VALU_DEP_3) | instskip(NEXT) | instid1(VALU_DEP_4)
	v_add_co_u32 v2, vcc_lo, v16, v2
	v_add_co_ci_u32_e32 v3, vcc_lo, 0, v3, vcc_lo
	s_delay_alu instid0(VALU_DEP_2) | instskip(NEXT) | instid1(VALU_DEP_2)
	v_add_co_u32 v2, vcc_lo, v2, v8
	v_add_co_ci_u32_e32 v2, vcc_lo, v3, v9, vcc_lo
	v_add_co_ci_u32_e32 v3, vcc_lo, 0, v11, vcc_lo
	s_delay_alu instid0(VALU_DEP_2) | instskip(NEXT) | instid1(VALU_DEP_2)
	v_add_co_u32 v8, vcc_lo, v2, v10
	v_add_co_ci_u32_e32 v9, vcc_lo, 0, v3, vcc_lo
	s_delay_alu instid0(VALU_DEP_2) | instskip(SKIP_1) | instid1(VALU_DEP_3)
	v_mul_lo_u32 v10, s7, v8
	v_mad_u64_u32 v[2:3], null, s6, v8, 0
	v_mul_lo_u32 v11, s6, v9
	s_delay_alu instid0(VALU_DEP_2) | instskip(NEXT) | instid1(VALU_DEP_2)
	v_sub_co_u32 v2, vcc_lo, v14, v2
	v_add3_u32 v3, v3, v11, v10
	s_delay_alu instid0(VALU_DEP_1) | instskip(NEXT) | instid1(VALU_DEP_1)
	v_sub_nc_u32_e32 v10, v12, v3
	v_subrev_co_ci_u32_e64 v10, s2, s7, v10, vcc_lo
	v_add_co_u32 v11, s2, v8, 2
	s_delay_alu instid0(VALU_DEP_1) | instskip(SKIP_3) | instid1(VALU_DEP_3)
	v_add_co_ci_u32_e64 v14, s2, 0, v9, s2
	v_sub_co_u32 v15, s2, v2, s6
	v_sub_co_ci_u32_e32 v3, vcc_lo, v12, v3, vcc_lo
	v_subrev_co_ci_u32_e64 v10, s2, 0, v10, s2
	v_cmp_le_u32_e32 vcc_lo, s6, v15
	s_delay_alu instid0(VALU_DEP_3) | instskip(SKIP_1) | instid1(VALU_DEP_4)
	v_cmp_eq_u32_e64 s2, s7, v3
	v_cndmask_b32_e64 v12, 0, -1, vcc_lo
	v_cmp_le_u32_e32 vcc_lo, s7, v10
	v_cndmask_b32_e64 v15, 0, -1, vcc_lo
	v_cmp_le_u32_e32 vcc_lo, s6, v2
	;; [unrolled: 2-line block ×3, first 2 shown]
	v_cndmask_b32_e64 v16, 0, -1, vcc_lo
	v_cmp_eq_u32_e32 vcc_lo, s7, v10
	s_delay_alu instid0(VALU_DEP_2) | instskip(SKIP_3) | instid1(VALU_DEP_3)
	v_cndmask_b32_e64 v2, v16, v2, s2
	v_cndmask_b32_e32 v10, v15, v12, vcc_lo
	v_add_co_u32 v12, vcc_lo, v8, 1
	v_add_co_ci_u32_e32 v15, vcc_lo, 0, v9, vcc_lo
	v_cmp_ne_u32_e32 vcc_lo, 0, v10
	s_delay_alu instid0(VALU_DEP_2) | instskip(SKIP_2) | instid1(VALU_DEP_3)
	v_dual_cndmask_b32 v3, v15, v14 :: v_dual_cndmask_b32 v10, v12, v11
	v_cmp_ne_u32_e32 vcc_lo, 0, v2
	v_xor_b32_e32 v11, s4, v13
	v_dual_cndmask_b32 v2, v9, v3 :: v_dual_cndmask_b32 v3, v8, v10
	s_delay_alu instid0(VALU_DEP_1) | instskip(NEXT) | instid1(VALU_DEP_2)
	v_xor_b32_e32 v8, v2, v11
	v_xor_b32_e32 v3, v3, v11
	s_delay_alu instid0(VALU_DEP_1) | instskip(NEXT) | instid1(VALU_DEP_3)
	v_sub_co_u32 v2, vcc_lo, v3, v11
	v_sub_co_ci_u32_e32 v3, vcc_lo, v8, v11, vcc_lo
.LBB9_7:
	s_and_not1_saveexec_b32 s2, s9
	s_cbranch_execz .LBB9_9
; %bb.8:
	v_cvt_f32_u32_e32 v2, s3
	s_sub_i32 s4, 0, s3
	s_delay_alu instid0(VALU_DEP_1) | instskip(SKIP_2) | instid1(VALU_DEP_1)
	v_rcp_iflag_f32_e32 v2, v2
	s_waitcnt_depctr 0xfff
	v_mul_f32_e32 v2, 0x4f7ffffe, v2
	v_cvt_u32_f32_e32 v2, v2
	s_delay_alu instid0(VALU_DEP_1) | instskip(NEXT) | instid1(VALU_DEP_1)
	v_mul_lo_u32 v3, s4, v2
	v_mul_hi_u32 v3, v2, v3
	s_delay_alu instid0(VALU_DEP_1) | instskip(NEXT) | instid1(VALU_DEP_1)
	v_add_nc_u32_e32 v2, v2, v3
	v_mul_hi_u32 v2, v6, v2
	s_delay_alu instid0(VALU_DEP_1) | instskip(SKIP_1) | instid1(VALU_DEP_2)
	v_mul_lo_u32 v3, v2, s3
	v_add_nc_u32_e32 v8, 1, v2
	v_sub_nc_u32_e32 v3, v6, v3
	s_delay_alu instid0(VALU_DEP_1) | instskip(SKIP_1) | instid1(VALU_DEP_2)
	v_subrev_nc_u32_e32 v9, s3, v3
	v_cmp_le_u32_e32 vcc_lo, s3, v3
	v_dual_cndmask_b32 v3, v3, v9 :: v_dual_cndmask_b32 v2, v2, v8
	s_delay_alu instid0(VALU_DEP_1) | instskip(NEXT) | instid1(VALU_DEP_2)
	v_cmp_le_u32_e32 vcc_lo, s3, v3
	v_dual_mov_b32 v3, 0 :: v_dual_add_nc_u32 v8, 1, v2
	s_delay_alu instid0(VALU_DEP_1)
	v_cndmask_b32_e32 v2, v2, v8, vcc_lo
.LBB9_9:
	s_or_b32 exec_lo, exec_lo, s2
	s_delay_alu instid0(VALU_DEP_1) | instskip(NEXT) | instid1(VALU_DEP_2)
	v_mul_lo_u32 v10, s8, v2
	v_mul_lo_u32 v11, s3, v3
	v_mad_u64_u32 v[8:9], null, s3, v2, 0
	s_delay_alu instid0(VALU_DEP_1) | instskip(NEXT) | instid1(VALU_DEP_2)
	v_add3_u32 v9, v9, v11, v10
	v_sub_co_u32 v12, vcc_lo, v6, v8
	v_mov_b32_e32 v6, 0
	s_delay_alu instid0(VALU_DEP_3) | instskip(NEXT) | instid1(VALU_DEP_1)
	v_sub_co_ci_u32_e32 v13, vcc_lo, v7, v9, vcc_lo
	v_or_b32_e32 v7, s23, v13
	s_delay_alu instid0(VALU_DEP_1) | instskip(SKIP_1) | instid1(SALU_CYCLE_1)
	v_cmp_ne_u64_e32 vcc_lo, 0, v[6:7]
                                        ; implicit-def: $vgpr6_vgpr7
	s_and_saveexec_b32 s2, vcc_lo
	s_xor_b32 s3, exec_lo, s2
	s_cbranch_execz .LBB9_11
; %bb.10:
	s_ashr_i32 s4, s23, 31
	s_delay_alu instid0(SALU_CYCLE_1) | instskip(SKIP_2) | instid1(SALU_CYCLE_1)
	s_add_u32 s6, s22, s4
	s_mov_b32 s5, s4
	s_addc_u32 s7, s23, s4
	s_xor_b64 s[6:7], s[6:7], s[4:5]
	s_delay_alu instid0(SALU_CYCLE_1) | instskip(SKIP_3) | instid1(VALU_DEP_1)
	v_cvt_f32_u32_e32 v6, s6
	v_cvt_f32_u32_e32 v7, s7
	s_sub_u32 s2, 0, s6
	s_subb_u32 s5, 0, s7
	v_fmamk_f32 v6, v7, 0x4f800000, v6
	s_delay_alu instid0(VALU_DEP_1) | instskip(SKIP_2) | instid1(VALU_DEP_1)
	v_rcp_f32_e32 v6, v6
	s_waitcnt_depctr 0xfff
	v_mul_f32_e32 v6, 0x5f7ffffc, v6
	v_mul_f32_e32 v7, 0x2f800000, v6
	s_delay_alu instid0(VALU_DEP_1) | instskip(NEXT) | instid1(VALU_DEP_1)
	v_trunc_f32_e32 v7, v7
	v_fmamk_f32 v6, v7, 0xcf800000, v6
	v_cvt_u32_f32_e32 v7, v7
	s_delay_alu instid0(VALU_DEP_2) | instskip(NEXT) | instid1(VALU_DEP_2)
	v_cvt_u32_f32_e32 v6, v6
	v_mul_lo_u32 v8, s2, v7
	s_delay_alu instid0(VALU_DEP_2) | instskip(SKIP_1) | instid1(VALU_DEP_2)
	v_mul_hi_u32 v9, s2, v6
	v_mul_lo_u32 v10, s5, v6
	v_add_nc_u32_e32 v8, v9, v8
	v_mul_lo_u32 v9, s2, v6
	s_delay_alu instid0(VALU_DEP_2) | instskip(NEXT) | instid1(VALU_DEP_2)
	v_add_nc_u32_e32 v8, v8, v10
	v_mul_hi_u32 v10, v6, v9
	s_delay_alu instid0(VALU_DEP_2)
	v_mul_lo_u32 v11, v6, v8
	v_mul_hi_u32 v14, v6, v8
	v_mul_hi_u32 v15, v7, v9
	v_mul_lo_u32 v9, v7, v9
	v_mul_hi_u32 v16, v7, v8
	v_mul_lo_u32 v8, v7, v8
	v_add_co_u32 v10, vcc_lo, v10, v11
	v_add_co_ci_u32_e32 v11, vcc_lo, 0, v14, vcc_lo
	s_delay_alu instid0(VALU_DEP_2) | instskip(NEXT) | instid1(VALU_DEP_2)
	v_add_co_u32 v9, vcc_lo, v10, v9
	v_add_co_ci_u32_e32 v9, vcc_lo, v11, v15, vcc_lo
	v_add_co_ci_u32_e32 v10, vcc_lo, 0, v16, vcc_lo
	v_ashrrev_i32_e32 v15, 31, v13
	s_delay_alu instid0(VALU_DEP_3) | instskip(NEXT) | instid1(VALU_DEP_3)
	v_add_co_u32 v8, vcc_lo, v9, v8
	v_add_co_ci_u32_e32 v9, vcc_lo, 0, v10, vcc_lo
	s_delay_alu instid0(VALU_DEP_2) | instskip(NEXT) | instid1(VALU_DEP_2)
	v_add_co_u32 v6, vcc_lo, v6, v8
	v_add_co_ci_u32_e32 v7, vcc_lo, v7, v9, vcc_lo
	s_delay_alu instid0(VALU_DEP_2) | instskip(SKIP_1) | instid1(VALU_DEP_3)
	v_mul_hi_u32 v8, s2, v6
	v_mul_lo_u32 v10, s5, v6
	v_mul_lo_u32 v9, s2, v7
	s_delay_alu instid0(VALU_DEP_1) | instskip(SKIP_1) | instid1(VALU_DEP_2)
	v_add_nc_u32_e32 v8, v8, v9
	v_mul_lo_u32 v9, s2, v6
	v_add_nc_u32_e32 v8, v8, v10
	s_delay_alu instid0(VALU_DEP_2) | instskip(NEXT) | instid1(VALU_DEP_2)
	v_mul_hi_u32 v10, v6, v9
	v_mul_lo_u32 v11, v6, v8
	v_mul_hi_u32 v14, v6, v8
	v_mul_hi_u32 v16, v7, v9
	v_mul_lo_u32 v9, v7, v9
	v_mul_hi_u32 v17, v7, v8
	v_mul_lo_u32 v8, v7, v8
	v_add_co_u32 v10, vcc_lo, v10, v11
	v_add_co_ci_u32_e32 v11, vcc_lo, 0, v14, vcc_lo
	s_delay_alu instid0(VALU_DEP_2) | instskip(NEXT) | instid1(VALU_DEP_2)
	v_add_co_u32 v9, vcc_lo, v10, v9
	v_add_co_ci_u32_e32 v9, vcc_lo, v11, v16, vcc_lo
	v_add_co_ci_u32_e32 v10, vcc_lo, 0, v17, vcc_lo
	v_add_co_u32 v11, vcc_lo, v12, v15
	v_add_co_ci_u32_e32 v14, vcc_lo, v13, v15, vcc_lo
	s_delay_alu instid0(VALU_DEP_4) | instskip(NEXT) | instid1(VALU_DEP_4)
	v_add_co_u32 v8, vcc_lo, v9, v8
	v_add_co_ci_u32_e32 v9, vcc_lo, 0, v10, vcc_lo
	s_delay_alu instid0(VALU_DEP_4) | instskip(NEXT) | instid1(VALU_DEP_3)
	v_xor_b32_e32 v16, v11, v15
	v_add_co_u32 v10, vcc_lo, v6, v8
	s_delay_alu instid0(VALU_DEP_3) | instskip(SKIP_1) | instid1(VALU_DEP_3)
	v_add_co_ci_u32_e32 v17, vcc_lo, v7, v9, vcc_lo
	v_xor_b32_e32 v14, v14, v15
	v_mul_hi_u32 v18, v16, v10
	s_delay_alu instid0(VALU_DEP_3) | instskip(NEXT) | instid1(VALU_DEP_3)
	v_mad_u64_u32 v[6:7], null, v16, v17, 0
	v_mad_u64_u32 v[8:9], null, v14, v10, 0
	v_mad_u64_u32 v[10:11], null, v14, v17, 0
	s_delay_alu instid0(VALU_DEP_3) | instskip(NEXT) | instid1(VALU_DEP_4)
	v_add_co_u32 v6, vcc_lo, v18, v6
	v_add_co_ci_u32_e32 v7, vcc_lo, 0, v7, vcc_lo
	s_delay_alu instid0(VALU_DEP_2) | instskip(NEXT) | instid1(VALU_DEP_2)
	v_add_co_u32 v6, vcc_lo, v6, v8
	v_add_co_ci_u32_e32 v6, vcc_lo, v7, v9, vcc_lo
	v_add_co_ci_u32_e32 v7, vcc_lo, 0, v11, vcc_lo
	s_delay_alu instid0(VALU_DEP_2) | instskip(NEXT) | instid1(VALU_DEP_2)
	v_add_co_u32 v8, vcc_lo, v6, v10
	v_add_co_ci_u32_e32 v9, vcc_lo, 0, v7, vcc_lo
	s_delay_alu instid0(VALU_DEP_2) | instskip(SKIP_1) | instid1(VALU_DEP_3)
	v_mul_lo_u32 v10, s7, v8
	v_mad_u64_u32 v[6:7], null, s6, v8, 0
	v_mul_lo_u32 v11, s6, v9
	s_delay_alu instid0(VALU_DEP_2) | instskip(NEXT) | instid1(VALU_DEP_2)
	v_sub_co_u32 v6, vcc_lo, v16, v6
	v_add3_u32 v7, v7, v11, v10
	s_delay_alu instid0(VALU_DEP_1) | instskip(NEXT) | instid1(VALU_DEP_1)
	v_sub_nc_u32_e32 v10, v14, v7
	v_subrev_co_ci_u32_e64 v10, s2, s7, v10, vcc_lo
	v_add_co_u32 v11, s2, v8, 2
	s_delay_alu instid0(VALU_DEP_1) | instskip(SKIP_3) | instid1(VALU_DEP_3)
	v_add_co_ci_u32_e64 v16, s2, 0, v9, s2
	v_sub_co_u32 v17, s2, v6, s6
	v_sub_co_ci_u32_e32 v7, vcc_lo, v14, v7, vcc_lo
	v_subrev_co_ci_u32_e64 v10, s2, 0, v10, s2
	v_cmp_le_u32_e32 vcc_lo, s6, v17
	s_delay_alu instid0(VALU_DEP_3) | instskip(SKIP_1) | instid1(VALU_DEP_4)
	v_cmp_eq_u32_e64 s2, s7, v7
	v_cndmask_b32_e64 v14, 0, -1, vcc_lo
	v_cmp_le_u32_e32 vcc_lo, s7, v10
	v_cndmask_b32_e64 v17, 0, -1, vcc_lo
	v_cmp_le_u32_e32 vcc_lo, s6, v6
	v_cndmask_b32_e64 v6, 0, -1, vcc_lo
	v_cmp_le_u32_e32 vcc_lo, s7, v7
	v_cndmask_b32_e64 v18, 0, -1, vcc_lo
	v_cmp_eq_u32_e32 vcc_lo, s7, v10
	s_delay_alu instid0(VALU_DEP_2) | instskip(SKIP_3) | instid1(VALU_DEP_3)
	v_cndmask_b32_e64 v6, v18, v6, s2
	v_cndmask_b32_e32 v10, v17, v14, vcc_lo
	v_add_co_u32 v14, vcc_lo, v8, 1
	v_add_co_ci_u32_e32 v17, vcc_lo, 0, v9, vcc_lo
	v_cmp_ne_u32_e32 vcc_lo, 0, v10
	s_delay_alu instid0(VALU_DEP_2) | instskip(SKIP_2) | instid1(VALU_DEP_3)
	v_dual_cndmask_b32 v7, v17, v16 :: v_dual_cndmask_b32 v10, v14, v11
	v_cmp_ne_u32_e32 vcc_lo, 0, v6
	v_xor_b32_e32 v11, s4, v15
	v_dual_cndmask_b32 v6, v9, v7 :: v_dual_cndmask_b32 v7, v8, v10
	s_delay_alu instid0(VALU_DEP_1) | instskip(NEXT) | instid1(VALU_DEP_2)
	v_xor_b32_e32 v8, v6, v11
	v_xor_b32_e32 v7, v7, v11
	s_delay_alu instid0(VALU_DEP_1) | instskip(NEXT) | instid1(VALU_DEP_3)
	v_sub_co_u32 v6, vcc_lo, v7, v11
	v_sub_co_ci_u32_e32 v7, vcc_lo, v8, v11, vcc_lo
.LBB9_11:
	s_and_not1_saveexec_b32 s2, s3
	s_cbranch_execz .LBB9_13
; %bb.12:
	v_cvt_f32_u32_e32 v6, s22
	s_sub_i32 s3, 0, s22
	s_delay_alu instid0(VALU_DEP_1) | instskip(SKIP_2) | instid1(VALU_DEP_1)
	v_rcp_iflag_f32_e32 v6, v6
	s_waitcnt_depctr 0xfff
	v_mul_f32_e32 v6, 0x4f7ffffe, v6
	v_cvt_u32_f32_e32 v6, v6
	s_delay_alu instid0(VALU_DEP_1) | instskip(NEXT) | instid1(VALU_DEP_1)
	v_mul_lo_u32 v7, s3, v6
	v_mul_hi_u32 v7, v6, v7
	s_delay_alu instid0(VALU_DEP_1) | instskip(NEXT) | instid1(VALU_DEP_1)
	v_add_nc_u32_e32 v6, v6, v7
	v_mul_hi_u32 v6, v12, v6
	s_delay_alu instid0(VALU_DEP_1) | instskip(SKIP_1) | instid1(VALU_DEP_2)
	v_mul_lo_u32 v7, v6, s22
	v_add_nc_u32_e32 v8, 1, v6
	v_sub_nc_u32_e32 v7, v12, v7
	s_delay_alu instid0(VALU_DEP_1) | instskip(SKIP_1) | instid1(VALU_DEP_2)
	v_subrev_nc_u32_e32 v9, s22, v7
	v_cmp_le_u32_e32 vcc_lo, s22, v7
	v_dual_cndmask_b32 v7, v7, v9 :: v_dual_cndmask_b32 v6, v6, v8
	s_delay_alu instid0(VALU_DEP_1) | instskip(NEXT) | instid1(VALU_DEP_2)
	v_cmp_le_u32_e32 vcc_lo, s22, v7
	v_dual_mov_b32 v7, 0 :: v_dual_add_nc_u32 v8, 1, v6
	s_delay_alu instid0(VALU_DEP_1)
	v_cndmask_b32_e32 v6, v6, v8, vcc_lo
.LBB9_13:
	s_or_b32 exec_lo, exec_lo, s2
	s_load_b512 s[36:51], s[0:1], 0x40
	v_mov_b32_e32 v8, 0
	s_waitcnt lgkmcnt(0)
	s_mul_i32 s2, s42, s41
	s_mul_hi_u32 s4, s42, s40
	s_mul_i32 s5, s43, s40
	s_mul_i32 s3, s42, s40
	s_add_i32 s8, s4, s2
	s_mul_i32 s2, s3, s45
	s_mul_hi_u32 s4, s3, s44
	s_add_i32 s8, s8, s5
	s_add_i32 s2, s4, s2
	s_mul_i32 s4, s8, s44
	s_mul_i32 s10, s3, s44
	s_add_i32 s9, s2, s4
	s_delay_alu instid0(SALU_CYCLE_1) | instskip(NEXT) | instid1(VALU_DEP_1)
	v_or_b32_e32 v9, s9, v5
	v_cmp_ne_u64_e32 vcc_lo, 0, v[8:9]
                                        ; implicit-def: $vgpr8_vgpr9
	s_and_saveexec_b32 s2, vcc_lo
	s_delay_alu instid0(SALU_CYCLE_1)
	s_xor_b32 s11, exec_lo, s2
	s_cbranch_execz .LBB9_15
; %bb.14:
	s_ashr_i32 s4, s9, 31
	s_delay_alu instid0(SALU_CYCLE_1) | instskip(SKIP_2) | instid1(SALU_CYCLE_1)
	s_add_u32 s6, s10, s4
	s_mov_b32 s5, s4
	s_addc_u32 s7, s9, s4
	s_xor_b64 s[6:7], s[6:7], s[4:5]
	s_delay_alu instid0(SALU_CYCLE_1) | instskip(SKIP_3) | instid1(VALU_DEP_1)
	v_cvt_f32_u32_e32 v8, s6
	v_cvt_f32_u32_e32 v9, s7
	s_sub_u32 s2, 0, s6
	s_subb_u32 s5, 0, s7
	v_fmamk_f32 v8, v9, 0x4f800000, v8
	s_delay_alu instid0(VALU_DEP_1) | instskip(SKIP_2) | instid1(VALU_DEP_1)
	v_rcp_f32_e32 v8, v8
	s_waitcnt_depctr 0xfff
	v_mul_f32_e32 v8, 0x5f7ffffc, v8
	v_mul_f32_e32 v9, 0x2f800000, v8
	s_delay_alu instid0(VALU_DEP_1) | instskip(NEXT) | instid1(VALU_DEP_1)
	v_trunc_f32_e32 v9, v9
	v_fmamk_f32 v8, v9, 0xcf800000, v8
	v_cvt_u32_f32_e32 v9, v9
	s_delay_alu instid0(VALU_DEP_2) | instskip(NEXT) | instid1(VALU_DEP_2)
	v_cvt_u32_f32_e32 v8, v8
	v_mul_lo_u32 v10, s2, v9
	s_delay_alu instid0(VALU_DEP_2) | instskip(SKIP_1) | instid1(VALU_DEP_2)
	v_mul_hi_u32 v11, s2, v8
	v_mul_lo_u32 v14, s5, v8
	v_add_nc_u32_e32 v10, v11, v10
	v_mul_lo_u32 v11, s2, v8
	s_delay_alu instid0(VALU_DEP_2) | instskip(NEXT) | instid1(VALU_DEP_2)
	v_add_nc_u32_e32 v10, v10, v14
	v_mul_hi_u32 v14, v8, v11
	s_delay_alu instid0(VALU_DEP_2)
	v_mul_lo_u32 v15, v8, v10
	v_mul_hi_u32 v16, v8, v10
	v_mul_hi_u32 v17, v9, v11
	v_mul_lo_u32 v11, v9, v11
	v_mul_hi_u32 v18, v9, v10
	v_mul_lo_u32 v10, v9, v10
	v_add_co_u32 v14, vcc_lo, v14, v15
	v_add_co_ci_u32_e32 v15, vcc_lo, 0, v16, vcc_lo
	s_delay_alu instid0(VALU_DEP_2) | instskip(NEXT) | instid1(VALU_DEP_2)
	v_add_co_u32 v11, vcc_lo, v14, v11
	v_add_co_ci_u32_e32 v11, vcc_lo, v15, v17, vcc_lo
	v_add_co_ci_u32_e32 v14, vcc_lo, 0, v18, vcc_lo
	s_delay_alu instid0(VALU_DEP_2) | instskip(NEXT) | instid1(VALU_DEP_2)
	v_add_co_u32 v10, vcc_lo, v11, v10
	v_add_co_ci_u32_e32 v11, vcc_lo, 0, v14, vcc_lo
	s_delay_alu instid0(VALU_DEP_2) | instskip(NEXT) | instid1(VALU_DEP_2)
	v_add_co_u32 v8, vcc_lo, v8, v10
	v_add_co_ci_u32_e32 v9, vcc_lo, v9, v11, vcc_lo
	s_delay_alu instid0(VALU_DEP_2) | instskip(SKIP_1) | instid1(VALU_DEP_3)
	v_mul_hi_u32 v10, s2, v8
	v_mul_lo_u32 v14, s5, v8
	v_mul_lo_u32 v11, s2, v9
	s_delay_alu instid0(VALU_DEP_1) | instskip(SKIP_1) | instid1(VALU_DEP_2)
	v_add_nc_u32_e32 v10, v10, v11
	v_mul_lo_u32 v11, s2, v8
	v_add_nc_u32_e32 v10, v10, v14
	s_delay_alu instid0(VALU_DEP_2) | instskip(NEXT) | instid1(VALU_DEP_2)
	v_mul_hi_u32 v14, v8, v11
	v_mul_lo_u32 v15, v8, v10
	v_mul_hi_u32 v16, v8, v10
	v_mul_hi_u32 v17, v9, v11
	v_mul_lo_u32 v11, v9, v11
	v_mul_hi_u32 v18, v9, v10
	v_mul_lo_u32 v10, v9, v10
	v_add_co_u32 v14, vcc_lo, v14, v15
	v_add_co_ci_u32_e32 v15, vcc_lo, 0, v16, vcc_lo
	s_delay_alu instid0(VALU_DEP_2) | instskip(NEXT) | instid1(VALU_DEP_2)
	v_add_co_u32 v11, vcc_lo, v14, v11
	v_add_co_ci_u32_e32 v11, vcc_lo, v15, v17, vcc_lo
	v_add_co_ci_u32_e32 v14, vcc_lo, 0, v18, vcc_lo
	s_delay_alu instid0(VALU_DEP_2) | instskip(NEXT) | instid1(VALU_DEP_2)
	v_add_co_u32 v10, vcc_lo, v11, v10
	v_add_co_ci_u32_e32 v11, vcc_lo, 0, v14, vcc_lo
	s_delay_alu instid0(VALU_DEP_2) | instskip(NEXT) | instid1(VALU_DEP_2)
	v_add_co_u32 v14, vcc_lo, v8, v10
	v_add_co_ci_u32_e32 v16, vcc_lo, v9, v11, vcc_lo
	s_delay_alu instid0(VALU_DEP_2) | instskip(SKIP_1) | instid1(VALU_DEP_3)
	v_mul_hi_u32 v17, v4, v14
	v_mad_u64_u32 v[10:11], null, v5, v14, 0
	v_mad_u64_u32 v[8:9], null, v4, v16, 0
	v_mad_u64_u32 v[14:15], null, v5, v16, 0
	s_delay_alu instid0(VALU_DEP_2) | instskip(NEXT) | instid1(VALU_DEP_3)
	v_add_co_u32 v8, vcc_lo, v17, v8
	v_add_co_ci_u32_e32 v9, vcc_lo, 0, v9, vcc_lo
	s_delay_alu instid0(VALU_DEP_2) | instskip(NEXT) | instid1(VALU_DEP_2)
	v_add_co_u32 v8, vcc_lo, v8, v10
	v_add_co_ci_u32_e32 v8, vcc_lo, v9, v11, vcc_lo
	v_add_co_ci_u32_e32 v9, vcc_lo, 0, v15, vcc_lo
	s_delay_alu instid0(VALU_DEP_2) | instskip(NEXT) | instid1(VALU_DEP_2)
	v_add_co_u32 v10, vcc_lo, v8, v14
	v_add_co_ci_u32_e32 v11, vcc_lo, 0, v9, vcc_lo
	s_delay_alu instid0(VALU_DEP_2) | instskip(SKIP_1) | instid1(VALU_DEP_3)
	v_mul_lo_u32 v14, s7, v10
	v_mad_u64_u32 v[8:9], null, s6, v10, 0
	v_mul_lo_u32 v15, s6, v11
	s_delay_alu instid0(VALU_DEP_2) | instskip(NEXT) | instid1(VALU_DEP_2)
	v_sub_co_u32 v8, vcc_lo, v4, v8
	v_add3_u32 v9, v9, v15, v14
	s_delay_alu instid0(VALU_DEP_1) | instskip(NEXT) | instid1(VALU_DEP_1)
	v_sub_nc_u32_e32 v14, v5, v9
	v_subrev_co_ci_u32_e64 v14, s2, s7, v14, vcc_lo
	v_add_co_u32 v15, s2, v10, 2
	s_delay_alu instid0(VALU_DEP_1) | instskip(SKIP_3) | instid1(VALU_DEP_3)
	v_add_co_ci_u32_e64 v16, s2, 0, v11, s2
	v_sub_co_u32 v17, s2, v8, s6
	v_sub_co_ci_u32_e32 v9, vcc_lo, v5, v9, vcc_lo
	v_subrev_co_ci_u32_e64 v14, s2, 0, v14, s2
	v_cmp_le_u32_e32 vcc_lo, s6, v17
	s_delay_alu instid0(VALU_DEP_3) | instskip(SKIP_1) | instid1(VALU_DEP_4)
	v_cmp_eq_u32_e64 s2, s7, v9
	v_cndmask_b32_e64 v17, 0, -1, vcc_lo
	v_cmp_le_u32_e32 vcc_lo, s7, v14
	v_cndmask_b32_e64 v18, 0, -1, vcc_lo
	v_cmp_le_u32_e32 vcc_lo, s6, v8
	;; [unrolled: 2-line block ×3, first 2 shown]
	v_cndmask_b32_e64 v19, 0, -1, vcc_lo
	v_cmp_eq_u32_e32 vcc_lo, s7, v14
	s_delay_alu instid0(VALU_DEP_2) | instskip(SKIP_3) | instid1(VALU_DEP_3)
	v_cndmask_b32_e64 v8, v19, v8, s2
	v_cndmask_b32_e32 v14, v18, v17, vcc_lo
	v_add_co_u32 v17, vcc_lo, v10, 1
	v_add_co_ci_u32_e32 v18, vcc_lo, 0, v11, vcc_lo
	v_cmp_ne_u32_e32 vcc_lo, 0, v14
	s_delay_alu instid0(VALU_DEP_2) | instskip(SKIP_1) | instid1(VALU_DEP_2)
	v_dual_cndmask_b32 v9, v18, v16 :: v_dual_cndmask_b32 v14, v17, v15
	v_cmp_ne_u32_e32 vcc_lo, 0, v8
	v_dual_cndmask_b32 v8, v11, v9 :: v_dual_cndmask_b32 v9, v10, v14
	s_delay_alu instid0(VALU_DEP_1) | instskip(NEXT) | instid1(VALU_DEP_2)
	v_xor_b32_e32 v10, s4, v8
	v_xor_b32_e32 v9, s4, v9
	s_delay_alu instid0(VALU_DEP_1) | instskip(NEXT) | instid1(VALU_DEP_3)
	v_sub_co_u32 v8, vcc_lo, v9, s4
	v_subrev_co_ci_u32_e32 v9, vcc_lo, s4, v10, vcc_lo
.LBB9_15:
	s_and_not1_saveexec_b32 s2, s11
	s_cbranch_execz .LBB9_17
; %bb.16:
	v_cvt_f32_u32_e32 v8, s10
	s_sub_i32 s4, 0, s10
	s_delay_alu instid0(VALU_DEP_1) | instskip(SKIP_2) | instid1(VALU_DEP_1)
	v_rcp_iflag_f32_e32 v8, v8
	s_waitcnt_depctr 0xfff
	v_mul_f32_e32 v8, 0x4f7ffffe, v8
	v_cvt_u32_f32_e32 v8, v8
	s_delay_alu instid0(VALU_DEP_1) | instskip(NEXT) | instid1(VALU_DEP_1)
	v_mul_lo_u32 v9, s4, v8
	v_mul_hi_u32 v9, v8, v9
	s_delay_alu instid0(VALU_DEP_1) | instskip(NEXT) | instid1(VALU_DEP_1)
	v_add_nc_u32_e32 v8, v8, v9
	v_mul_hi_u32 v8, v4, v8
	s_delay_alu instid0(VALU_DEP_1) | instskip(SKIP_1) | instid1(VALU_DEP_2)
	v_mul_lo_u32 v9, v8, s10
	v_add_nc_u32_e32 v10, 1, v8
	v_sub_nc_u32_e32 v9, v4, v9
	s_delay_alu instid0(VALU_DEP_1) | instskip(SKIP_1) | instid1(VALU_DEP_2)
	v_subrev_nc_u32_e32 v11, s10, v9
	v_cmp_le_u32_e32 vcc_lo, s10, v9
	v_dual_cndmask_b32 v9, v9, v11 :: v_dual_cndmask_b32 v8, v8, v10
	s_delay_alu instid0(VALU_DEP_1) | instskip(NEXT) | instid1(VALU_DEP_2)
	v_cmp_le_u32_e32 vcc_lo, s10, v9
	v_dual_mov_b32 v9, 0 :: v_dual_add_nc_u32 v10, 1, v8
	s_delay_alu instid0(VALU_DEP_1)
	v_cndmask_b32_e32 v8, v8, v10, vcc_lo
.LBB9_17:
	s_or_b32 exec_lo, exec_lo, s2
	s_delay_alu instid0(VALU_DEP_1) | instskip(NEXT) | instid1(VALU_DEP_2)
	v_mul_lo_u32 v14, s9, v8
	v_mul_lo_u32 v15, s10, v9
	v_mad_u64_u32 v[10:11], null, s10, v8, 0
	s_delay_alu instid0(VALU_DEP_1) | instskip(NEXT) | instid1(VALU_DEP_2)
	v_add3_u32 v11, v11, v15, v14
	v_sub_co_u32 v10, vcc_lo, v4, v10
	v_mov_b32_e32 v4, 0
	s_delay_alu instid0(VALU_DEP_3) | instskip(NEXT) | instid1(VALU_DEP_1)
	v_sub_co_ci_u32_e32 v11, vcc_lo, v5, v11, vcc_lo
	v_or_b32_e32 v5, s8, v11
	s_delay_alu instid0(VALU_DEP_1) | instskip(SKIP_1) | instid1(SALU_CYCLE_1)
	v_cmp_ne_u64_e32 vcc_lo, 0, v[4:5]
                                        ; implicit-def: $vgpr4_vgpr5
	s_and_saveexec_b32 s2, vcc_lo
	s_xor_b32 s9, exec_lo, s2
	s_cbranch_execz .LBB9_19
; %bb.18:
	s_ashr_i32 s4, s8, 31
	s_delay_alu instid0(SALU_CYCLE_1) | instskip(SKIP_2) | instid1(SALU_CYCLE_1)
	s_add_u32 s6, s3, s4
	s_mov_b32 s5, s4
	s_addc_u32 s7, s8, s4
	s_xor_b64 s[6:7], s[6:7], s[4:5]
	s_delay_alu instid0(SALU_CYCLE_1) | instskip(SKIP_3) | instid1(VALU_DEP_1)
	v_cvt_f32_u32_e32 v4, s6
	v_cvt_f32_u32_e32 v5, s7
	s_sub_u32 s2, 0, s6
	s_subb_u32 s5, 0, s7
	v_fmamk_f32 v4, v5, 0x4f800000, v4
	s_delay_alu instid0(VALU_DEP_1) | instskip(SKIP_2) | instid1(VALU_DEP_1)
	v_rcp_f32_e32 v4, v4
	s_waitcnt_depctr 0xfff
	v_mul_f32_e32 v4, 0x5f7ffffc, v4
	v_mul_f32_e32 v5, 0x2f800000, v4
	s_delay_alu instid0(VALU_DEP_1) | instskip(NEXT) | instid1(VALU_DEP_1)
	v_trunc_f32_e32 v5, v5
	v_fmamk_f32 v4, v5, 0xcf800000, v4
	v_cvt_u32_f32_e32 v5, v5
	s_delay_alu instid0(VALU_DEP_2) | instskip(NEXT) | instid1(VALU_DEP_2)
	v_cvt_u32_f32_e32 v4, v4
	v_mul_lo_u32 v14, s2, v5
	s_delay_alu instid0(VALU_DEP_2) | instskip(SKIP_1) | instid1(VALU_DEP_2)
	v_mul_hi_u32 v15, s2, v4
	v_mul_lo_u32 v16, s5, v4
	v_add_nc_u32_e32 v14, v15, v14
	v_mul_lo_u32 v15, s2, v4
	s_delay_alu instid0(VALU_DEP_2) | instskip(NEXT) | instid1(VALU_DEP_2)
	v_add_nc_u32_e32 v14, v14, v16
	v_mul_hi_u32 v16, v4, v15
	s_delay_alu instid0(VALU_DEP_2)
	v_mul_lo_u32 v17, v4, v14
	v_mul_hi_u32 v18, v4, v14
	v_mul_hi_u32 v19, v5, v15
	v_mul_lo_u32 v15, v5, v15
	v_mul_hi_u32 v20, v5, v14
	v_mul_lo_u32 v14, v5, v14
	v_add_co_u32 v16, vcc_lo, v16, v17
	v_add_co_ci_u32_e32 v17, vcc_lo, 0, v18, vcc_lo
	s_delay_alu instid0(VALU_DEP_2) | instskip(NEXT) | instid1(VALU_DEP_2)
	v_add_co_u32 v15, vcc_lo, v16, v15
	v_add_co_ci_u32_e32 v15, vcc_lo, v17, v19, vcc_lo
	v_add_co_ci_u32_e32 v16, vcc_lo, 0, v20, vcc_lo
	v_ashrrev_i32_e32 v19, 31, v11
	s_delay_alu instid0(VALU_DEP_3) | instskip(NEXT) | instid1(VALU_DEP_3)
	v_add_co_u32 v14, vcc_lo, v15, v14
	v_add_co_ci_u32_e32 v15, vcc_lo, 0, v16, vcc_lo
	s_delay_alu instid0(VALU_DEP_2) | instskip(NEXT) | instid1(VALU_DEP_2)
	v_add_co_u32 v4, vcc_lo, v4, v14
	v_add_co_ci_u32_e32 v5, vcc_lo, v5, v15, vcc_lo
	s_delay_alu instid0(VALU_DEP_2) | instskip(SKIP_1) | instid1(VALU_DEP_3)
	v_mul_hi_u32 v14, s2, v4
	v_mul_lo_u32 v16, s5, v4
	v_mul_lo_u32 v15, s2, v5
	s_delay_alu instid0(VALU_DEP_1) | instskip(SKIP_1) | instid1(VALU_DEP_2)
	v_add_nc_u32_e32 v14, v14, v15
	v_mul_lo_u32 v15, s2, v4
	v_add_nc_u32_e32 v14, v14, v16
	s_delay_alu instid0(VALU_DEP_2) | instskip(NEXT) | instid1(VALU_DEP_2)
	v_mul_hi_u32 v16, v4, v15
	v_mul_lo_u32 v17, v4, v14
	v_mul_hi_u32 v18, v4, v14
	v_mul_hi_u32 v20, v5, v15
	v_mul_lo_u32 v15, v5, v15
	v_mul_hi_u32 v21, v5, v14
	v_mul_lo_u32 v14, v5, v14
	v_add_co_u32 v16, vcc_lo, v16, v17
	v_add_co_ci_u32_e32 v17, vcc_lo, 0, v18, vcc_lo
	s_delay_alu instid0(VALU_DEP_2) | instskip(NEXT) | instid1(VALU_DEP_2)
	v_add_co_u32 v15, vcc_lo, v16, v15
	v_add_co_ci_u32_e32 v15, vcc_lo, v17, v20, vcc_lo
	v_add_co_ci_u32_e32 v16, vcc_lo, 0, v21, vcc_lo
	v_add_co_u32 v17, vcc_lo, v10, v19
	v_add_co_ci_u32_e32 v18, vcc_lo, v11, v19, vcc_lo
	s_delay_alu instid0(VALU_DEP_4) | instskip(NEXT) | instid1(VALU_DEP_4)
	v_add_co_u32 v14, vcc_lo, v15, v14
	v_add_co_ci_u32_e32 v15, vcc_lo, 0, v16, vcc_lo
	s_delay_alu instid0(VALU_DEP_4) | instskip(NEXT) | instid1(VALU_DEP_3)
	v_xor_b32_e32 v20, v17, v19
	v_add_co_u32 v16, vcc_lo, v4, v14
	s_delay_alu instid0(VALU_DEP_3) | instskip(SKIP_1) | instid1(VALU_DEP_3)
	v_add_co_ci_u32_e32 v21, vcc_lo, v5, v15, vcc_lo
	v_xor_b32_e32 v18, v18, v19
	v_mul_hi_u32 v22, v20, v16
	s_delay_alu instid0(VALU_DEP_3) | instskip(NEXT) | instid1(VALU_DEP_3)
	v_mad_u64_u32 v[4:5], null, v20, v21, 0
	v_mad_u64_u32 v[14:15], null, v18, v16, 0
	;; [unrolled: 1-line block ×3, first 2 shown]
	s_delay_alu instid0(VALU_DEP_3) | instskip(NEXT) | instid1(VALU_DEP_4)
	v_add_co_u32 v4, vcc_lo, v22, v4
	v_add_co_ci_u32_e32 v5, vcc_lo, 0, v5, vcc_lo
	s_delay_alu instid0(VALU_DEP_2) | instskip(NEXT) | instid1(VALU_DEP_2)
	v_add_co_u32 v4, vcc_lo, v4, v14
	v_add_co_ci_u32_e32 v4, vcc_lo, v5, v15, vcc_lo
	v_add_co_ci_u32_e32 v5, vcc_lo, 0, v17, vcc_lo
	s_delay_alu instid0(VALU_DEP_2) | instskip(NEXT) | instid1(VALU_DEP_2)
	v_add_co_u32 v14, vcc_lo, v4, v16
	v_add_co_ci_u32_e32 v15, vcc_lo, 0, v5, vcc_lo
	s_delay_alu instid0(VALU_DEP_2) | instskip(SKIP_1) | instid1(VALU_DEP_3)
	v_mul_lo_u32 v16, s7, v14
	v_mad_u64_u32 v[4:5], null, s6, v14, 0
	v_mul_lo_u32 v17, s6, v15
	s_delay_alu instid0(VALU_DEP_2) | instskip(NEXT) | instid1(VALU_DEP_2)
	v_sub_co_u32 v4, vcc_lo, v20, v4
	v_add3_u32 v5, v5, v17, v16
	s_delay_alu instid0(VALU_DEP_1) | instskip(NEXT) | instid1(VALU_DEP_1)
	v_sub_nc_u32_e32 v16, v18, v5
	v_subrev_co_ci_u32_e64 v16, s2, s7, v16, vcc_lo
	v_add_co_u32 v17, s2, v14, 2
	s_delay_alu instid0(VALU_DEP_1) | instskip(SKIP_3) | instid1(VALU_DEP_3)
	v_add_co_ci_u32_e64 v20, s2, 0, v15, s2
	v_sub_co_u32 v21, s2, v4, s6
	v_sub_co_ci_u32_e32 v5, vcc_lo, v18, v5, vcc_lo
	v_subrev_co_ci_u32_e64 v16, s2, 0, v16, s2
	v_cmp_le_u32_e32 vcc_lo, s6, v21
	s_delay_alu instid0(VALU_DEP_3) | instskip(SKIP_1) | instid1(VALU_DEP_4)
	v_cmp_eq_u32_e64 s2, s7, v5
	v_cndmask_b32_e64 v18, 0, -1, vcc_lo
	v_cmp_le_u32_e32 vcc_lo, s7, v16
	v_cndmask_b32_e64 v21, 0, -1, vcc_lo
	v_cmp_le_u32_e32 vcc_lo, s6, v4
	;; [unrolled: 2-line block ×3, first 2 shown]
	v_cndmask_b32_e64 v22, 0, -1, vcc_lo
	v_cmp_eq_u32_e32 vcc_lo, s7, v16
	s_delay_alu instid0(VALU_DEP_2) | instskip(SKIP_3) | instid1(VALU_DEP_3)
	v_cndmask_b32_e64 v4, v22, v4, s2
	v_cndmask_b32_e32 v16, v21, v18, vcc_lo
	v_add_co_u32 v18, vcc_lo, v14, 1
	v_add_co_ci_u32_e32 v21, vcc_lo, 0, v15, vcc_lo
	v_cmp_ne_u32_e32 vcc_lo, 0, v16
	s_delay_alu instid0(VALU_DEP_2) | instskip(SKIP_2) | instid1(VALU_DEP_3)
	v_dual_cndmask_b32 v5, v21, v20 :: v_dual_cndmask_b32 v16, v18, v17
	v_cmp_ne_u32_e32 vcc_lo, 0, v4
	v_xor_b32_e32 v17, s4, v19
	v_dual_cndmask_b32 v4, v15, v5 :: v_dual_cndmask_b32 v5, v14, v16
	s_delay_alu instid0(VALU_DEP_1) | instskip(NEXT) | instid1(VALU_DEP_2)
	v_xor_b32_e32 v14, v4, v17
	v_xor_b32_e32 v5, v5, v17
	s_delay_alu instid0(VALU_DEP_1) | instskip(NEXT) | instid1(VALU_DEP_3)
	v_sub_co_u32 v4, vcc_lo, v5, v17
	v_sub_co_ci_u32_e32 v5, vcc_lo, v14, v17, vcc_lo
.LBB9_19:
	s_and_not1_saveexec_b32 s2, s9
	s_cbranch_execz .LBB9_21
; %bb.20:
	v_cvt_f32_u32_e32 v4, s3
	s_sub_i32 s4, 0, s3
	s_delay_alu instid0(VALU_DEP_1) | instskip(SKIP_2) | instid1(VALU_DEP_1)
	v_rcp_iflag_f32_e32 v4, v4
	s_waitcnt_depctr 0xfff
	v_mul_f32_e32 v4, 0x4f7ffffe, v4
	v_cvt_u32_f32_e32 v4, v4
	s_delay_alu instid0(VALU_DEP_1) | instskip(NEXT) | instid1(VALU_DEP_1)
	v_mul_lo_u32 v5, s4, v4
	v_mul_hi_u32 v5, v4, v5
	s_delay_alu instid0(VALU_DEP_1) | instskip(NEXT) | instid1(VALU_DEP_1)
	v_add_nc_u32_e32 v4, v4, v5
	v_mul_hi_u32 v4, v10, v4
	s_delay_alu instid0(VALU_DEP_1) | instskip(SKIP_1) | instid1(VALU_DEP_2)
	v_mul_lo_u32 v5, v4, s3
	v_add_nc_u32_e32 v14, 1, v4
	v_sub_nc_u32_e32 v5, v10, v5
	s_delay_alu instid0(VALU_DEP_1) | instskip(SKIP_1) | instid1(VALU_DEP_2)
	v_subrev_nc_u32_e32 v15, s3, v5
	v_cmp_le_u32_e32 vcc_lo, s3, v5
	v_dual_cndmask_b32 v5, v5, v15 :: v_dual_cndmask_b32 v4, v4, v14
	s_delay_alu instid0(VALU_DEP_1) | instskip(NEXT) | instid1(VALU_DEP_2)
	v_cmp_le_u32_e32 vcc_lo, s3, v5
	v_dual_mov_b32 v5, 0 :: v_dual_add_nc_u32 v14, 1, v4
	s_delay_alu instid0(VALU_DEP_1)
	v_cndmask_b32_e32 v4, v4, v14, vcc_lo
.LBB9_21:
	s_or_b32 exec_lo, exec_lo, s2
	s_delay_alu instid0(VALU_DEP_1) | instskip(NEXT) | instid1(VALU_DEP_2)
	v_mul_lo_u32 v16, s8, v4
	v_mul_lo_u32 v17, s3, v5
	v_mad_u64_u32 v[14:15], null, s3, v4, 0
	s_delay_alu instid0(VALU_DEP_1) | instskip(NEXT) | instid1(VALU_DEP_2)
	v_add3_u32 v15, v15, v17, v16
	v_sub_co_u32 v14, vcc_lo, v10, v14
	v_mov_b32_e32 v10, 0
	s_delay_alu instid0(VALU_DEP_3) | instskip(NEXT) | instid1(VALU_DEP_1)
	v_sub_co_ci_u32_e32 v15, vcc_lo, v11, v15, vcc_lo
	v_or_b32_e32 v11, s41, v15
	s_delay_alu instid0(VALU_DEP_1) | instskip(SKIP_1) | instid1(SALU_CYCLE_1)
	v_cmp_ne_u64_e32 vcc_lo, 0, v[10:11]
                                        ; implicit-def: $vgpr10_vgpr11
	s_and_saveexec_b32 s2, vcc_lo
	s_xor_b32 s3, exec_lo, s2
	s_cbranch_execz .LBB9_23
; %bb.22:
	s_ashr_i32 s4, s41, 31
	s_delay_alu instid0(SALU_CYCLE_1) | instskip(SKIP_2) | instid1(SALU_CYCLE_1)
	s_add_u32 s6, s40, s4
	s_mov_b32 s5, s4
	s_addc_u32 s7, s41, s4
	s_xor_b64 s[6:7], s[6:7], s[4:5]
	s_delay_alu instid0(SALU_CYCLE_1) | instskip(SKIP_3) | instid1(VALU_DEP_1)
	v_cvt_f32_u32_e32 v10, s6
	v_cvt_f32_u32_e32 v11, s7
	s_sub_u32 s2, 0, s6
	s_subb_u32 s5, 0, s7
	v_fmamk_f32 v10, v11, 0x4f800000, v10
	s_delay_alu instid0(VALU_DEP_1) | instskip(SKIP_2) | instid1(VALU_DEP_1)
	v_rcp_f32_e32 v10, v10
	s_waitcnt_depctr 0xfff
	v_mul_f32_e32 v10, 0x5f7ffffc, v10
	v_mul_f32_e32 v11, 0x2f800000, v10
	s_delay_alu instid0(VALU_DEP_1) | instskip(NEXT) | instid1(VALU_DEP_1)
	v_trunc_f32_e32 v11, v11
	v_fmamk_f32 v10, v11, 0xcf800000, v10
	v_cvt_u32_f32_e32 v11, v11
	s_delay_alu instid0(VALU_DEP_2) | instskip(NEXT) | instid1(VALU_DEP_2)
	v_cvt_u32_f32_e32 v10, v10
	v_mul_lo_u32 v16, s2, v11
	s_delay_alu instid0(VALU_DEP_2) | instskip(SKIP_1) | instid1(VALU_DEP_2)
	v_mul_hi_u32 v17, s2, v10
	v_mul_lo_u32 v18, s5, v10
	v_add_nc_u32_e32 v16, v17, v16
	v_mul_lo_u32 v17, s2, v10
	s_delay_alu instid0(VALU_DEP_2) | instskip(NEXT) | instid1(VALU_DEP_2)
	v_add_nc_u32_e32 v16, v16, v18
	v_mul_hi_u32 v18, v10, v17
	s_delay_alu instid0(VALU_DEP_2)
	v_mul_lo_u32 v19, v10, v16
	v_mul_hi_u32 v20, v10, v16
	v_mul_hi_u32 v21, v11, v17
	v_mul_lo_u32 v17, v11, v17
	v_mul_hi_u32 v22, v11, v16
	v_mul_lo_u32 v16, v11, v16
	v_add_co_u32 v18, vcc_lo, v18, v19
	v_add_co_ci_u32_e32 v19, vcc_lo, 0, v20, vcc_lo
	s_delay_alu instid0(VALU_DEP_2) | instskip(NEXT) | instid1(VALU_DEP_2)
	v_add_co_u32 v17, vcc_lo, v18, v17
	v_add_co_ci_u32_e32 v17, vcc_lo, v19, v21, vcc_lo
	v_add_co_ci_u32_e32 v18, vcc_lo, 0, v22, vcc_lo
	v_ashrrev_i32_e32 v21, 31, v15
	s_delay_alu instid0(VALU_DEP_3) | instskip(NEXT) | instid1(VALU_DEP_3)
	v_add_co_u32 v16, vcc_lo, v17, v16
	v_add_co_ci_u32_e32 v17, vcc_lo, 0, v18, vcc_lo
	s_delay_alu instid0(VALU_DEP_2) | instskip(NEXT) | instid1(VALU_DEP_2)
	v_add_co_u32 v10, vcc_lo, v10, v16
	v_add_co_ci_u32_e32 v11, vcc_lo, v11, v17, vcc_lo
	s_delay_alu instid0(VALU_DEP_2) | instskip(SKIP_1) | instid1(VALU_DEP_3)
	v_mul_hi_u32 v16, s2, v10
	v_mul_lo_u32 v18, s5, v10
	v_mul_lo_u32 v17, s2, v11
	s_delay_alu instid0(VALU_DEP_1) | instskip(SKIP_1) | instid1(VALU_DEP_2)
	v_add_nc_u32_e32 v16, v16, v17
	v_mul_lo_u32 v17, s2, v10
	v_add_nc_u32_e32 v16, v16, v18
	s_delay_alu instid0(VALU_DEP_2) | instskip(NEXT) | instid1(VALU_DEP_2)
	v_mul_hi_u32 v18, v10, v17
	v_mul_lo_u32 v19, v10, v16
	v_mul_hi_u32 v20, v10, v16
	v_mul_hi_u32 v22, v11, v17
	v_mul_lo_u32 v17, v11, v17
	v_mul_hi_u32 v23, v11, v16
	v_mul_lo_u32 v16, v11, v16
	v_add_co_u32 v18, vcc_lo, v18, v19
	v_add_co_ci_u32_e32 v19, vcc_lo, 0, v20, vcc_lo
	s_delay_alu instid0(VALU_DEP_2) | instskip(NEXT) | instid1(VALU_DEP_2)
	v_add_co_u32 v17, vcc_lo, v18, v17
	v_add_co_ci_u32_e32 v17, vcc_lo, v19, v22, vcc_lo
	v_add_co_ci_u32_e32 v18, vcc_lo, 0, v23, vcc_lo
	v_add_co_u32 v19, vcc_lo, v14, v21
	v_add_co_ci_u32_e32 v20, vcc_lo, v15, v21, vcc_lo
	s_delay_alu instid0(VALU_DEP_4) | instskip(NEXT) | instid1(VALU_DEP_4)
	v_add_co_u32 v16, vcc_lo, v17, v16
	v_add_co_ci_u32_e32 v17, vcc_lo, 0, v18, vcc_lo
	s_delay_alu instid0(VALU_DEP_4) | instskip(NEXT) | instid1(VALU_DEP_3)
	v_xor_b32_e32 v22, v19, v21
	v_add_co_u32 v18, vcc_lo, v10, v16
	s_delay_alu instid0(VALU_DEP_3) | instskip(SKIP_1) | instid1(VALU_DEP_3)
	v_add_co_ci_u32_e32 v23, vcc_lo, v11, v17, vcc_lo
	v_xor_b32_e32 v20, v20, v21
	v_mul_hi_u32 v24, v22, v18
	s_delay_alu instid0(VALU_DEP_3) | instskip(NEXT) | instid1(VALU_DEP_3)
	v_mad_u64_u32 v[10:11], null, v22, v23, 0
	v_mad_u64_u32 v[16:17], null, v20, v18, 0
	;; [unrolled: 1-line block ×3, first 2 shown]
	s_delay_alu instid0(VALU_DEP_3) | instskip(NEXT) | instid1(VALU_DEP_4)
	v_add_co_u32 v10, vcc_lo, v24, v10
	v_add_co_ci_u32_e32 v11, vcc_lo, 0, v11, vcc_lo
	s_delay_alu instid0(VALU_DEP_2) | instskip(NEXT) | instid1(VALU_DEP_2)
	v_add_co_u32 v10, vcc_lo, v10, v16
	v_add_co_ci_u32_e32 v10, vcc_lo, v11, v17, vcc_lo
	v_add_co_ci_u32_e32 v11, vcc_lo, 0, v19, vcc_lo
	s_delay_alu instid0(VALU_DEP_2) | instskip(NEXT) | instid1(VALU_DEP_2)
	v_add_co_u32 v16, vcc_lo, v10, v18
	v_add_co_ci_u32_e32 v17, vcc_lo, 0, v11, vcc_lo
	s_delay_alu instid0(VALU_DEP_2) | instskip(SKIP_1) | instid1(VALU_DEP_3)
	v_mul_lo_u32 v18, s7, v16
	v_mad_u64_u32 v[10:11], null, s6, v16, 0
	v_mul_lo_u32 v19, s6, v17
	s_delay_alu instid0(VALU_DEP_2) | instskip(NEXT) | instid1(VALU_DEP_2)
	v_sub_co_u32 v10, vcc_lo, v22, v10
	v_add3_u32 v11, v11, v19, v18
	s_delay_alu instid0(VALU_DEP_1) | instskip(NEXT) | instid1(VALU_DEP_1)
	v_sub_nc_u32_e32 v18, v20, v11
	v_subrev_co_ci_u32_e64 v18, s2, s7, v18, vcc_lo
	v_add_co_u32 v19, s2, v16, 2
	s_delay_alu instid0(VALU_DEP_1) | instskip(SKIP_3) | instid1(VALU_DEP_3)
	v_add_co_ci_u32_e64 v22, s2, 0, v17, s2
	v_sub_co_u32 v23, s2, v10, s6
	v_sub_co_ci_u32_e32 v11, vcc_lo, v20, v11, vcc_lo
	v_subrev_co_ci_u32_e64 v18, s2, 0, v18, s2
	v_cmp_le_u32_e32 vcc_lo, s6, v23
	s_delay_alu instid0(VALU_DEP_3) | instskip(SKIP_1) | instid1(VALU_DEP_4)
	v_cmp_eq_u32_e64 s2, s7, v11
	v_cndmask_b32_e64 v20, 0, -1, vcc_lo
	v_cmp_le_u32_e32 vcc_lo, s7, v18
	v_cndmask_b32_e64 v23, 0, -1, vcc_lo
	v_cmp_le_u32_e32 vcc_lo, s6, v10
	;; [unrolled: 2-line block ×3, first 2 shown]
	v_cndmask_b32_e64 v24, 0, -1, vcc_lo
	v_cmp_eq_u32_e32 vcc_lo, s7, v18
	s_delay_alu instid0(VALU_DEP_2) | instskip(SKIP_3) | instid1(VALU_DEP_3)
	v_cndmask_b32_e64 v10, v24, v10, s2
	v_cndmask_b32_e32 v18, v23, v20, vcc_lo
	v_add_co_u32 v20, vcc_lo, v16, 1
	v_add_co_ci_u32_e32 v23, vcc_lo, 0, v17, vcc_lo
	v_cmp_ne_u32_e32 vcc_lo, 0, v18
	s_delay_alu instid0(VALU_DEP_2) | instskip(SKIP_2) | instid1(VALU_DEP_3)
	v_dual_cndmask_b32 v11, v23, v22 :: v_dual_cndmask_b32 v18, v20, v19
	v_cmp_ne_u32_e32 vcc_lo, 0, v10
	v_xor_b32_e32 v19, s4, v21
	v_dual_cndmask_b32 v10, v17, v11 :: v_dual_cndmask_b32 v11, v16, v18
	s_delay_alu instid0(VALU_DEP_1) | instskip(NEXT) | instid1(VALU_DEP_2)
	v_xor_b32_e32 v16, v10, v19
	v_xor_b32_e32 v11, v11, v19
	s_delay_alu instid0(VALU_DEP_1) | instskip(NEXT) | instid1(VALU_DEP_3)
	v_sub_co_u32 v10, vcc_lo, v11, v19
	v_sub_co_ci_u32_e32 v11, vcc_lo, v16, v19, vcc_lo
.LBB9_23:
	s_and_not1_saveexec_b32 s2, s3
	s_cbranch_execz .LBB9_25
; %bb.24:
	v_cvt_f32_u32_e32 v10, s40
	s_sub_i32 s3, 0, s40
	s_delay_alu instid0(VALU_DEP_1) | instskip(SKIP_2) | instid1(VALU_DEP_1)
	v_rcp_iflag_f32_e32 v10, v10
	s_waitcnt_depctr 0xfff
	v_mul_f32_e32 v10, 0x4f7ffffe, v10
	v_cvt_u32_f32_e32 v10, v10
	s_delay_alu instid0(VALU_DEP_1) | instskip(NEXT) | instid1(VALU_DEP_1)
	v_mul_lo_u32 v11, s3, v10
	v_mul_hi_u32 v11, v10, v11
	s_delay_alu instid0(VALU_DEP_1) | instskip(NEXT) | instid1(VALU_DEP_1)
	v_add_nc_u32_e32 v10, v10, v11
	v_mul_hi_u32 v10, v14, v10
	s_delay_alu instid0(VALU_DEP_1) | instskip(SKIP_1) | instid1(VALU_DEP_2)
	v_mul_lo_u32 v11, v10, s40
	v_add_nc_u32_e32 v16, 1, v10
	v_sub_nc_u32_e32 v11, v14, v11
	s_delay_alu instid0(VALU_DEP_1) | instskip(SKIP_1) | instid1(VALU_DEP_2)
	v_subrev_nc_u32_e32 v17, s40, v11
	v_cmp_le_u32_e32 vcc_lo, s40, v11
	v_dual_cndmask_b32 v11, v11, v17 :: v_dual_cndmask_b32 v10, v10, v16
	s_delay_alu instid0(VALU_DEP_1) | instskip(NEXT) | instid1(VALU_DEP_2)
	v_cmp_le_u32_e32 vcc_lo, s40, v11
	v_dual_mov_b32 v11, 0 :: v_dual_add_nc_u32 v16, 1, v10
	s_delay_alu instid0(VALU_DEP_1)
	v_cndmask_b32_e32 v10, v10, v16, vcc_lo
.LBB9_25:
	s_or_b32 exec_lo, exec_lo, s2
	v_mul_lo_u32 v18, v7, s22
	v_mul_lo_u32 v19, v6, s23
	v_mad_u64_u32 v[16:17], null, v6, s22, 0
	v_mul_lo_u32 v7, v7, s30
	v_mul_lo_u32 v3, v3, s36
	s_load_b64 s[0:1], s[0:1], 0x80
	s_delay_alu instid0(VALU_DEP_3) | instskip(NEXT) | instid1(VALU_DEP_4)
	v_add3_u32 v17, v17, v19, v18
	v_sub_co_u32 v12, vcc_lo, v12, v16
	s_delay_alu instid0(VALU_DEP_2) | instskip(NEXT) | instid1(VALU_DEP_1)
	v_sub_co_ci_u32_e32 v13, vcc_lo, v13, v17, vcc_lo
	v_ashrrev_i32_e32 v16, 31, v13
	s_delay_alu instid0(VALU_DEP_1) | instskip(SKIP_2) | instid1(VALU_DEP_2)
	v_lshrrev_b32_e32 v16, 27, v16
	s_waitcnt lgkmcnt(0)
	v_mul_lo_u32 v9, v9, s0
	v_add_co_u32 v12, vcc_lo, v12, v16
	v_add_co_ci_u32_e32 v13, vcc_lo, 0, v13, vcc_lo
	s_delay_alu instid0(VALU_DEP_1) | instskip(NEXT) | instid1(VALU_DEP_1)
	v_ashrrev_i64 v[12:13], 5, v[12:13]
	v_mul_lo_u32 v18, v12, s29
	s_delay_alu instid0(VALU_DEP_2) | instskip(SKIP_1) | instid1(VALU_DEP_1)
	v_mul_lo_u32 v13, v13, s28
	v_mad_u64_u32 v[16:17], null, v12, s28, s[16:17]
	v_add3_u32 v17, v13, v17, v18
	v_mul_lo_u32 v18, v6, s31
	s_delay_alu instid0(VALU_DEP_2) | instskip(SKIP_2) | instid1(VALU_DEP_3)
	v_mad_u64_u32 v[12:13], null, v6, s30, v[16:17]
	v_mul_lo_u32 v16, v2, s37
	v_mul_lo_u32 v17, v10, s41
	v_add3_u32 v13, v7, v13, v18
	s_delay_alu instid0(VALU_DEP_1) | instskip(SKIP_1) | instid1(VALU_DEP_2)
	v_mad_u64_u32 v[6:7], null, v2, s36, v[12:13]
	v_mul_lo_u32 v12, v1, s38
	v_add3_u32 v7, v3, v7, v16
	v_mul_lo_u32 v3, v0, s39
	s_delay_alu instid0(VALU_DEP_2) | instskip(SKIP_1) | instid1(VALU_DEP_2)
	v_mad_u64_u32 v[1:2], null, v0, s38, v[6:7]
	v_mad_u64_u32 v[6:7], null, v10, s40, 0
	v_add3_u32 v2, v12, v2, v3
	s_clause 0x3
	global_load_u8 v0, v[1:2], off offset:8
	global_load_u8 v3, v[1:2], off offset:6
	;; [unrolled: 1-line block ×3, first 2 shown]
	global_load_b32 v16, v[1:2], off
	v_mul_lo_u32 v12, v11, s40
	s_delay_alu instid0(VALU_DEP_1) | instskip(SKIP_1) | instid1(VALU_DEP_2)
	v_add3_u32 v7, v7, v17, v12
	v_sub_co_u32 v12, vcc_lo, v14, v6
	v_sub_co_ci_u32_e32 v14, vcc_lo, v15, v7, vcc_lo
	s_delay_alu instid0(VALU_DEP_2) | instskip(SKIP_1) | instid1(VALU_DEP_3)
	v_mul_lo_u32 v15, v12, s47
	v_mad_u64_u32 v[6:7], null, v12, s46, s[18:19]
	v_mul_lo_u32 v12, v14, s46
	v_mul_lo_u32 v14, v10, s49
	s_delay_alu instid0(VALU_DEP_2) | instskip(SKIP_1) | instid1(VALU_DEP_2)
	v_add3_u32 v7, v12, v7, v15
	v_mul_lo_u32 v15, v11, s48
	v_mad_u64_u32 v[11:12], null, v10, s48, v[6:7]
	v_mul_lo_u32 v7, v4, s51
	v_mul_lo_u32 v10, v5, s50
	s_delay_alu instid0(VALU_DEP_3) | instskip(NEXT) | instid1(VALU_DEP_1)
	v_add3_u32 v12, v15, v12, v14
	v_mad_u64_u32 v[5:6], null, v4, s50, v[11:12]
	v_mul_lo_u32 v11, v8, s1
	s_delay_alu instid0(VALU_DEP_2)
	v_add3_u32 v6, v10, v6, v7
	s_waitcnt vmcnt(3)
	v_and_b32_e32 v12, 15, v0
	s_waitcnt vmcnt(2)
	v_lshlrev_b32_e32 v7, 4, v3
	s_waitcnt vmcnt(1)
	v_lshlrev_b32_e32 v10, 4, v13
	v_lshrrev_b16 v0, 4, v0
	v_mad_u64_u32 v[3:4], null, v8, s0, v[5:6]
	s_delay_alu instid0(VALU_DEP_3) | instskip(NEXT) | instid1(VALU_DEP_3)
	v_and_or_b32 v5, v10, 16, v12
	v_and_or_b32 v0, v7, 16, v0
	s_delay_alu instid0(VALU_DEP_2) | instskip(NEXT) | instid1(VALU_DEP_2)
	v_cvt_f32_ubyte0_e32 v5, v5
	v_cvt_f32_ubyte0_e32 v0, v0
	v_add3_u32 v4, v9, v4, v11
	s_waitcnt vmcnt(0)
	s_delay_alu instid0(VALU_DEP_3) | instskip(NEXT) | instid1(VALU_DEP_3)
	v_fma_mix_f32 v5, v16, v5, v16 op_sel:[0,0,1] op_sel_hi:[1,0,1]
	v_fma_mix_f32 v0, v16, v0, v16 op_sel:[0,0,1] op_sel_hi:[1,0,1]
	s_clause 0x1
	global_store_b32 v[3:4], v5, off
	global_store_b32 v[3:4], v0, off offset:64
	s_clause 0x3
	global_load_u8 v0, v[1:2], off offset:9
	global_load_u8 v5, v[1:2], off offset:6
	global_load_u8 v6, v[1:2], off offset:4
	global_load_b32 v7, v[1:2], off
	s_waitcnt vmcnt(3)
	v_and_b32_e32 v8, 15, v0
	s_waitcnt vmcnt(2)
	v_lshlrev_b32_e32 v5, 3, v5
	s_waitcnt vmcnt(1)
	v_lshlrev_b32_e32 v6, 3, v6
	v_lshrrev_b16 v0, 4, v0
	s_delay_alu instid0(VALU_DEP_2) | instskip(NEXT) | instid1(VALU_DEP_2)
	v_and_or_b32 v6, v6, 16, v8
	v_and_or_b32 v0, v5, 16, v0
	s_delay_alu instid0(VALU_DEP_2) | instskip(NEXT) | instid1(VALU_DEP_2)
	v_cvt_f32_ubyte0_e32 v5, v6
	v_cvt_f32_ubyte0_e32 v0, v0
	s_waitcnt vmcnt(0)
	s_delay_alu instid0(VALU_DEP_2) | instskip(NEXT) | instid1(VALU_DEP_2)
	v_fma_mix_f32 v5, v7, v5, v7 op_sel:[0,0,1] op_sel_hi:[1,0,1]
	v_fma_mix_f32 v0, v7, v0, v7 op_sel:[0,0,1] op_sel_hi:[1,0,1]
	s_clause 0x1
	global_store_b32 v[3:4], v5, off offset:4
	global_store_b32 v[3:4], v0, off offset:68
	s_clause 0x3
	global_load_u8 v0, v[1:2], off offset:10
	global_load_u8 v5, v[1:2], off offset:6
	global_load_u8 v6, v[1:2], off offset:4
	global_load_b32 v7, v[1:2], off
	s_waitcnt vmcnt(3)
	v_and_b32_e32 v8, 15, v0
	s_waitcnt vmcnt(2)
	v_lshlrev_b32_e32 v5, 2, v5
	s_waitcnt vmcnt(1)
	v_lshlrev_b32_e32 v6, 2, v6
	v_lshrrev_b16 v0, 4, v0
	s_delay_alu instid0(VALU_DEP_2) | instskip(NEXT) | instid1(VALU_DEP_2)
	v_and_or_b32 v6, v6, 16, v8
	v_and_or_b32 v0, v5, 16, v0
	s_delay_alu instid0(VALU_DEP_2) | instskip(NEXT) | instid1(VALU_DEP_2)
	v_cvt_f32_ubyte0_e32 v5, v6
	v_cvt_f32_ubyte0_e32 v0, v0
	s_waitcnt vmcnt(0)
	s_delay_alu instid0(VALU_DEP_2) | instskip(NEXT) | instid1(VALU_DEP_2)
	v_fma_mix_f32 v5, v7, v5, v7 op_sel:[0,0,1] op_sel_hi:[1,0,1]
	v_fma_mix_f32 v0, v7, v0, v7 op_sel:[0,0,1] op_sel_hi:[1,0,1]
	s_clause 0x1
	global_store_b32 v[3:4], v5, off offset:8
	;; [unrolled: 25-line block ×3, first 2 shown]
	global_store_b32 v[3:4], v0, off offset:76
	s_clause 0x3
	global_load_u8 v0, v[1:2], off offset:4
	global_load_u8 v5, v[1:2], off offset:6
	;; [unrolled: 1-line block ×3, first 2 shown]
	global_load_b32 v7, v[1:2], off
	s_waitcnt vmcnt(3)
	v_and_b32_e32 v0, 16, v0
	s_waitcnt vmcnt(2)
	v_and_b32_e32 v5, 16, v5
	;; [unrolled: 2-line block ×3, first 2 shown]
	v_lshrrev_b16 v6, 4, v6
	s_delay_alu instid0(VALU_DEP_2) | instskip(NEXT) | instid1(VALU_DEP_2)
	v_or_b32_e32 v0, v8, v0
	v_or_b32_e32 v5, v6, v5
	s_delay_alu instid0(VALU_DEP_2) | instskip(NEXT) | instid1(VALU_DEP_2)
	v_cvt_f32_ubyte0_e32 v0, v0
	v_cvt_f32_ubyte0_e32 v5, v5
	s_waitcnt vmcnt(0)
	s_delay_alu instid0(VALU_DEP_2) | instskip(NEXT) | instid1(VALU_DEP_2)
	v_fma_mix_f32 v0, v7, v0, v7 op_sel:[0,0,1] op_sel_hi:[1,0,1]
	v_fma_mix_f32 v5, v7, v5, v7 op_sel:[0,0,1] op_sel_hi:[1,0,1]
	s_clause 0x1
	global_store_b32 v[3:4], v0, off offset:16
	global_store_b32 v[3:4], v5, off offset:80
	s_clause 0x3
	global_load_u8 v0, v[1:2], off offset:4
	global_load_u8 v5, v[1:2], off offset:6
	global_load_u8 v6, v[1:2], off offset:13
	global_load_b32 v7, v[1:2], off
	s_waitcnt vmcnt(3)
	v_lshrrev_b16 v0, 1, v0
	s_waitcnt vmcnt(2)
	v_lshrrev_b16 v5, 1, v5
	s_waitcnt vmcnt(1)
	v_and_b32_e32 v8, 15, v6
	v_lshrrev_b16 v6, 4, v6
	v_and_b32_e32 v0, 16, v0
	v_and_b32_e32 v5, 16, v5
	s_delay_alu instid0(VALU_DEP_2) | instskip(NEXT) | instid1(VALU_DEP_2)
	v_or_b32_e32 v0, v8, v0
	v_or_b32_e32 v5, v5, v6
	s_delay_alu instid0(VALU_DEP_2) | instskip(NEXT) | instid1(VALU_DEP_2)
	v_cvt_f32_ubyte0_e32 v0, v0
	v_cvt_f32_ubyte0_e32 v5, v5
	s_waitcnt vmcnt(0)
	s_delay_alu instid0(VALU_DEP_2) | instskip(NEXT) | instid1(VALU_DEP_2)
	v_fma_mix_f32 v0, v7, v0, v7 op_sel:[0,0,1] op_sel_hi:[1,0,1]
	v_fma_mix_f32 v5, v7, v5, v7 op_sel:[0,0,1] op_sel_hi:[1,0,1]
	s_clause 0x1
	global_store_b32 v[3:4], v0, off offset:20
	global_store_b32 v[3:4], v5, off offset:84
	s_clause 0x3
	global_load_u8 v0, v[1:2], off offset:4
	global_load_u8 v5, v[1:2], off offset:6
	global_load_u8 v6, v[1:2], off offset:14
	global_load_b32 v7, v[1:2], off
	s_waitcnt vmcnt(3)
	v_lshrrev_b16 v0, 2, v0
	s_waitcnt vmcnt(2)
	v_lshrrev_b16 v5, 2, v5
	s_waitcnt vmcnt(1)
	v_and_b32_e32 v8, 15, v6
	v_lshrrev_b16 v6, 4, v6
	v_and_b32_e32 v0, 16, v0
	v_and_b32_e32 v5, 16, v5
	s_delay_alu instid0(VALU_DEP_2) | instskip(NEXT) | instid1(VALU_DEP_2)
	v_or_b32_e32 v0, v8, v0
	v_or_b32_e32 v5, v5, v6
	s_delay_alu instid0(VALU_DEP_2) | instskip(NEXT) | instid1(VALU_DEP_2)
	v_cvt_f32_ubyte0_e32 v0, v0
	v_cvt_f32_ubyte0_e32 v5, v5
	s_waitcnt vmcnt(0)
	s_delay_alu instid0(VALU_DEP_2) | instskip(NEXT) | instid1(VALU_DEP_2)
	v_fma_mix_f32 v0, v7, v0, v7 op_sel:[0,0,1] op_sel_hi:[1,0,1]
	v_fma_mix_f32 v5, v7, v5, v7 op_sel:[0,0,1] op_sel_hi:[1,0,1]
	s_clause 0x1
	global_store_b32 v[3:4], v0, off offset:24
	global_store_b32 v[3:4], v5, off offset:88
	s_clause 0x3
	global_load_u8 v0, v[1:2], off offset:4
	global_load_u8 v5, v[1:2], off offset:6
	global_load_u8 v6, v[1:2], off offset:15
	global_load_b32 v7, v[1:2], off
	s_waitcnt vmcnt(3)
	v_lshrrev_b16 v0, 3, v0
	s_waitcnt vmcnt(2)
	v_lshrrev_b16 v5, 3, v5
	s_waitcnt vmcnt(1)
	v_and_b32_e32 v8, 15, v6
	v_lshrrev_b16 v6, 4, v6
	v_and_b32_e32 v0, 16, v0
	v_and_b32_e32 v5, 16, v5
	s_delay_alu instid0(VALU_DEP_2) | instskip(NEXT) | instid1(VALU_DEP_2)
	v_or_b32_e32 v0, v8, v0
	v_or_b32_e32 v5, v5, v6
	s_delay_alu instid0(VALU_DEP_2) | instskip(NEXT) | instid1(VALU_DEP_2)
	v_cvt_f32_ubyte0_e32 v0, v0
	v_cvt_f32_ubyte0_e32 v5, v5
	s_waitcnt vmcnt(0)
	s_delay_alu instid0(VALU_DEP_2) | instskip(NEXT) | instid1(VALU_DEP_2)
	v_fma_mix_f32 v0, v7, v0, v7 op_sel:[0,0,1] op_sel_hi:[1,0,1]
	v_fma_mix_f32 v5, v7, v5, v7 op_sel:[0,0,1] op_sel_hi:[1,0,1]
	s_clause 0x1
	global_store_b32 v[3:4], v0, off offset:28
	global_store_b32 v[3:4], v5, off offset:92
	s_clause 0x3
	global_load_u8 v0, v[1:2], off offset:16
	global_load_u8 v5, v[1:2], off offset:7
	global_load_u8 v6, v[1:2], off offset:5
	global_load_b32 v7, v[1:2], off
	s_waitcnt vmcnt(3)
	v_and_b32_e32 v8, 15, v0
	s_waitcnt vmcnt(2)
	v_lshlrev_b32_e32 v5, 4, v5
	s_waitcnt vmcnt(1)
	v_lshlrev_b32_e32 v6, 4, v6
	v_lshrrev_b16 v0, 4, v0
	s_delay_alu instid0(VALU_DEP_2) | instskip(NEXT) | instid1(VALU_DEP_2)
	v_and_or_b32 v6, v6, 16, v8
	v_and_or_b32 v0, v5, 16, v0
	s_delay_alu instid0(VALU_DEP_2) | instskip(NEXT) | instid1(VALU_DEP_2)
	v_cvt_f32_ubyte0_e32 v5, v6
	v_cvt_f32_ubyte0_e32 v0, v0
	s_waitcnt vmcnt(0)
	s_delay_alu instid0(VALU_DEP_2) | instskip(NEXT) | instid1(VALU_DEP_2)
	v_fma_mix_f32 v5, v7, v5, v7 op_sel:[0,0,1] op_sel_hi:[1,0,1]
	v_fma_mix_f32 v0, v7, v0, v7 op_sel:[0,0,1] op_sel_hi:[1,0,1]
	s_clause 0x1
	global_store_b32 v[3:4], v5, off offset:32
	global_store_b32 v[3:4], v0, off offset:96
	s_clause 0x3
	global_load_u8 v0, v[1:2], off offset:17
	global_load_u8 v5, v[1:2], off offset:7
	global_load_u8 v6, v[1:2], off offset:5
	global_load_b32 v7, v[1:2], off
	s_waitcnt vmcnt(3)
	v_and_b32_e32 v8, 15, v0
	s_waitcnt vmcnt(2)
	v_lshlrev_b32_e32 v5, 3, v5
	s_waitcnt vmcnt(1)
	v_lshlrev_b32_e32 v6, 3, v6
	v_lshrrev_b16 v0, 4, v0
	s_delay_alu instid0(VALU_DEP_2) | instskip(NEXT) | instid1(VALU_DEP_2)
	v_and_or_b32 v6, v6, 16, v8
	v_and_or_b32 v0, v5, 16, v0
	;; [unrolled: 25-line block ×4, first 2 shown]
	s_delay_alu instid0(VALU_DEP_2) | instskip(NEXT) | instid1(VALU_DEP_2)
	v_cvt_f32_ubyte0_e32 v5, v6
	v_cvt_f32_ubyte0_e32 v0, v0
	s_waitcnt vmcnt(0)
	s_delay_alu instid0(VALU_DEP_2) | instskip(NEXT) | instid1(VALU_DEP_2)
	v_fma_mix_f32 v5, v7, v5, v7 op_sel:[0,0,1] op_sel_hi:[1,0,1]
	v_fma_mix_f32 v0, v7, v0, v7 op_sel:[0,0,1] op_sel_hi:[1,0,1]
	s_clause 0x1
	global_store_b32 v[3:4], v5, off offset:44
	global_store_b32 v[3:4], v0, off offset:108
	s_clause 0x3
	global_load_u8 v0, v[1:2], off offset:5
	global_load_u8 v5, v[1:2], off offset:7
	;; [unrolled: 1-line block ×3, first 2 shown]
	global_load_b32 v7, v[1:2], off
	s_waitcnt vmcnt(3)
	v_and_b32_e32 v0, 16, v0
	s_waitcnt vmcnt(2)
	v_and_b32_e32 v5, 16, v5
	;; [unrolled: 2-line block ×3, first 2 shown]
	v_lshrrev_b16 v6, 4, v6
	s_delay_alu instid0(VALU_DEP_2) | instskip(NEXT) | instid1(VALU_DEP_2)
	v_or_b32_e32 v0, v8, v0
	v_or_b32_e32 v5, v6, v5
	s_delay_alu instid0(VALU_DEP_2) | instskip(NEXT) | instid1(VALU_DEP_2)
	v_cvt_f32_ubyte0_e32 v0, v0
	v_cvt_f32_ubyte0_e32 v5, v5
	s_waitcnt vmcnt(0)
	s_delay_alu instid0(VALU_DEP_2) | instskip(NEXT) | instid1(VALU_DEP_2)
	v_fma_mix_f32 v0, v7, v0, v7 op_sel:[0,0,1] op_sel_hi:[1,0,1]
	v_fma_mix_f32 v5, v7, v5, v7 op_sel:[0,0,1] op_sel_hi:[1,0,1]
	s_clause 0x1
	global_store_b32 v[3:4], v0, off offset:48
	global_store_b32 v[3:4], v5, off offset:112
	s_clause 0x3
	global_load_u8 v0, v[1:2], off offset:5
	global_load_u8 v5, v[1:2], off offset:7
	global_load_u8 v6, v[1:2], off offset:21
	global_load_b32 v7, v[1:2], off
	s_waitcnt vmcnt(3)
	v_lshrrev_b16 v0, 1, v0
	s_waitcnt vmcnt(2)
	v_lshrrev_b16 v5, 1, v5
	s_waitcnt vmcnt(1)
	v_and_b32_e32 v8, 15, v6
	v_lshrrev_b16 v6, 4, v6
	v_and_b32_e32 v0, 16, v0
	v_and_b32_e32 v5, 16, v5
	s_delay_alu instid0(VALU_DEP_2) | instskip(NEXT) | instid1(VALU_DEP_2)
	v_or_b32_e32 v0, v8, v0
	v_or_b32_e32 v5, v5, v6
	s_delay_alu instid0(VALU_DEP_2) | instskip(NEXT) | instid1(VALU_DEP_2)
	v_cvt_f32_ubyte0_e32 v0, v0
	v_cvt_f32_ubyte0_e32 v5, v5
	s_waitcnt vmcnt(0)
	s_delay_alu instid0(VALU_DEP_2) | instskip(NEXT) | instid1(VALU_DEP_2)
	v_fma_mix_f32 v0, v7, v0, v7 op_sel:[0,0,1] op_sel_hi:[1,0,1]
	v_fma_mix_f32 v5, v7, v5, v7 op_sel:[0,0,1] op_sel_hi:[1,0,1]
	s_clause 0x1
	global_store_b32 v[3:4], v0, off offset:52
	global_store_b32 v[3:4], v5, off offset:116
	s_clause 0x3
	global_load_u8 v0, v[1:2], off offset:5
	global_load_u8 v5, v[1:2], off offset:7
	global_load_u8 v6, v[1:2], off offset:22
	global_load_b32 v7, v[1:2], off
	s_waitcnt vmcnt(3)
	v_lshrrev_b16 v0, 2, v0
	s_waitcnt vmcnt(2)
	v_lshrrev_b16 v5, 2, v5
	s_waitcnt vmcnt(1)
	v_and_b32_e32 v8, 15, v6
	v_lshrrev_b16 v6, 4, v6
	v_and_b32_e32 v0, 16, v0
	v_and_b32_e32 v5, 16, v5
	s_delay_alu instid0(VALU_DEP_2) | instskip(NEXT) | instid1(VALU_DEP_2)
	v_or_b32_e32 v0, v8, v0
	v_or_b32_e32 v5, v5, v6
	s_delay_alu instid0(VALU_DEP_2) | instskip(NEXT) | instid1(VALU_DEP_2)
	v_cvt_f32_ubyte0_e32 v0, v0
	v_cvt_f32_ubyte0_e32 v5, v5
	s_waitcnt vmcnt(0)
	s_delay_alu instid0(VALU_DEP_2) | instskip(NEXT) | instid1(VALU_DEP_2)
	v_fma_mix_f32 v0, v7, v0, v7 op_sel:[0,0,1] op_sel_hi:[1,0,1]
	v_fma_mix_f32 v5, v7, v5, v7 op_sel:[0,0,1] op_sel_hi:[1,0,1]
	s_clause 0x1
	global_store_b32 v[3:4], v0, off offset:56
	global_store_b32 v[3:4], v5, off offset:120
	s_clause 0x3
	global_load_u8 v0, v[1:2], off offset:5
	global_load_u8 v5, v[1:2], off offset:7
	global_load_u8 v6, v[1:2], off offset:23
	global_load_b32 v1, v[1:2], off
	s_waitcnt vmcnt(3)
	v_lshrrev_b16 v0, 3, v0
	s_waitcnt vmcnt(2)
	v_lshrrev_b16 v2, 3, v5
	s_waitcnt vmcnt(1)
	v_and_b32_e32 v5, 15, v6
	v_lshrrev_b16 v6, 4, v6
	v_and_b32_e32 v0, 16, v0
	v_and_b32_e32 v2, 16, v2
	s_delay_alu instid0(VALU_DEP_2) | instskip(NEXT) | instid1(VALU_DEP_2)
	v_or_b32_e32 v0, v5, v0
	v_or_b32_e32 v2, v2, v6
	s_delay_alu instid0(VALU_DEP_2) | instskip(NEXT) | instid1(VALU_DEP_2)
	v_cvt_f32_ubyte0_e32 v0, v0
	v_cvt_f32_ubyte0_e32 v2, v2
	s_waitcnt vmcnt(0)
	s_delay_alu instid0(VALU_DEP_2) | instskip(NEXT) | instid1(VALU_DEP_2)
	v_fma_mix_f32 v0, v1, v0, v1 op_sel:[0,0,1] op_sel_hi:[1,0,1]
	v_fma_mix_f32 v1, v1, v2, v1 op_sel:[0,0,1] op_sel_hi:[1,0,1]
	s_clause 0x1
	global_store_b32 v[3:4], v0, off offset:60
	global_store_b32 v[3:4], v1, off offset:124
.LBB9_26:
	s_nop 0
	s_sendmsg sendmsg(MSG_DEALLOC_VGPRS)
	s_endpgm
	.section	.rodata,"a",@progbits
	.p2align	6, 0x0
	.amdhsa_kernel _ZL9cpy_q_f32IXadL_ZL14cpy_blck_q_f32IXadL_ZL15dequantize_q5_1PKvliR15HIP_vector_typeIfLj2EEEELi32EEvPKcPcEELi32EEvS7_S8_lllllllllllllll
		.amdhsa_group_segment_fixed_size 0
		.amdhsa_private_segment_fixed_size 0
		.amdhsa_kernarg_size 392
		.amdhsa_user_sgpr_count 15
		.amdhsa_user_sgpr_dispatch_ptr 0
		.amdhsa_user_sgpr_queue_ptr 0
		.amdhsa_user_sgpr_kernarg_segment_ptr 1
		.amdhsa_user_sgpr_dispatch_id 0
		.amdhsa_user_sgpr_private_segment_size 0
		.amdhsa_wavefront_size32 1
		.amdhsa_uses_dynamic_stack 0
		.amdhsa_enable_private_segment 0
		.amdhsa_system_sgpr_workgroup_id_x 1
		.amdhsa_system_sgpr_workgroup_id_y 0
		.amdhsa_system_sgpr_workgroup_id_z 0
		.amdhsa_system_sgpr_workgroup_info 0
		.amdhsa_system_vgpr_workitem_id 0
		.amdhsa_next_free_vgpr 25
		.amdhsa_next_free_sgpr 52
		.amdhsa_reserve_vcc 1
		.amdhsa_float_round_mode_32 0
		.amdhsa_float_round_mode_16_64 0
		.amdhsa_float_denorm_mode_32 3
		.amdhsa_float_denorm_mode_16_64 3
		.amdhsa_dx10_clamp 1
		.amdhsa_ieee_mode 1
		.amdhsa_fp16_overflow 0
		.amdhsa_workgroup_processor_mode 1
		.amdhsa_memory_ordered 1
		.amdhsa_forward_progress 0
		.amdhsa_shared_vgpr_count 0
		.amdhsa_exception_fp_ieee_invalid_op 0
		.amdhsa_exception_fp_denorm_src 0
		.amdhsa_exception_fp_ieee_div_zero 0
		.amdhsa_exception_fp_ieee_overflow 0
		.amdhsa_exception_fp_ieee_underflow 0
		.amdhsa_exception_fp_ieee_inexact 0
		.amdhsa_exception_int_div_zero 0
	.end_amdhsa_kernel
	.section	.text._ZL9cpy_q_f32IXadL_ZL14cpy_blck_q_f32IXadL_ZL15dequantize_q5_1PKvliR15HIP_vector_typeIfLj2EEEELi32EEvPKcPcEELi32EEvS7_S8_lllllllllllllll,"axG",@progbits,_ZL9cpy_q_f32IXadL_ZL14cpy_blck_q_f32IXadL_ZL15dequantize_q5_1PKvliR15HIP_vector_typeIfLj2EEEELi32EEvPKcPcEELi32EEvS7_S8_lllllllllllllll,comdat
.Lfunc_end9:
	.size	_ZL9cpy_q_f32IXadL_ZL14cpy_blck_q_f32IXadL_ZL15dequantize_q5_1PKvliR15HIP_vector_typeIfLj2EEEELi32EEvPKcPcEELi32EEvS7_S8_lllllllllllllll, .Lfunc_end9-_ZL9cpy_q_f32IXadL_ZL14cpy_blck_q_f32IXadL_ZL15dequantize_q5_1PKvliR15HIP_vector_typeIfLj2EEEELi32EEvPKcPcEELi32EEvS7_S8_lllllllllllllll
                                        ; -- End function
	.section	.AMDGPU.csdata,"",@progbits
; Kernel info:
; codeLenInByte = 9112
; NumSgprs: 54
; NumVgprs: 25
; ScratchSize: 0
; MemoryBound: 0
; FloatMode: 240
; IeeeMode: 1
; LDSByteSize: 0 bytes/workgroup (compile time only)
; SGPRBlocks: 6
; VGPRBlocks: 3
; NumSGPRsForWavesPerEU: 54
; NumVGPRsForWavesPerEU: 25
; Occupancy: 16
; WaveLimiterHint : 0
; COMPUTE_PGM_RSRC2:SCRATCH_EN: 0
; COMPUTE_PGM_RSRC2:USER_SGPR: 15
; COMPUTE_PGM_RSRC2:TRAP_HANDLER: 0
; COMPUTE_PGM_RSRC2:TGID_X_EN: 1
; COMPUTE_PGM_RSRC2:TGID_Y_EN: 0
; COMPUTE_PGM_RSRC2:TGID_Z_EN: 0
; COMPUTE_PGM_RSRC2:TIDIG_COMP_CNT: 0
	.section	.text._ZL9cpy_f32_qIXadL_ZL19cpy_blck_f32_iq4_nlPKcPcEELi32EEvS1_S2_lllllllllllllll,"axG",@progbits,_ZL9cpy_f32_qIXadL_ZL19cpy_blck_f32_iq4_nlPKcPcEELi32EEvS1_S2_lllllllllllllll,comdat
	.globl	_ZL9cpy_f32_qIXadL_ZL19cpy_blck_f32_iq4_nlPKcPcEELi32EEvS1_S2_lllllllllllllll ; -- Begin function _ZL9cpy_f32_qIXadL_ZL19cpy_blck_f32_iq4_nlPKcPcEELi32EEvS1_S2_lllllllllllllll
	.p2align	8
	.type	_ZL9cpy_f32_qIXadL_ZL19cpy_blck_f32_iq4_nlPKcPcEELi32EEvS1_S2_lllllllllllllll,@function
_ZL9cpy_f32_qIXadL_ZL19cpy_blck_f32_iq4_nlPKcPcEELi32EEvS1_S2_lllllllllllllll: ; @_ZL9cpy_f32_qIXadL_ZL19cpy_blck_f32_iq4_nlPKcPcEELi32EEvS1_S2_lllllllllllllll
; %bb.0:
	s_load_b32 s2, s[0:1], 0x94
	v_mov_b32_e32 v2, 0
	s_load_b512 s[16:31], s[0:1], 0x0
	s_delay_alu instid0(VALU_DEP_1)
	v_mov_b32_e32 v1, v2
	s_waitcnt lgkmcnt(0)
	s_and_b32 s2, s2, 0xffff
	s_delay_alu instid0(VALU_DEP_1) | instid1(SALU_CYCLE_1)
	v_mad_u64_u32 v[3:4], null, s2, s15, v[0:1]
	s_mov_b32 s2, exec_lo
	s_delay_alu instid0(VALU_DEP_1) | instskip(NEXT) | instid1(VALU_DEP_1)
	v_lshlrev_b64 v[4:5], 5, v[3:4]
	v_cmpx_gt_i64_e64 s[20:21], v[4:5]
	s_cbranch_execz .LBB10_40
; %bb.1:
	s_mul_i32 s2, s24, s23
	s_mul_hi_u32 s3, s24, s22
                                        ; implicit-def: $vgpr0_vgpr1
	s_delay_alu instid0(SALU_CYCLE_1)
	s_add_i32 s8, s3, s2
	s_mul_i32 s3, s24, s22
	s_mul_i32 s2, s25, s22
	;; [unrolled: 1-line block ×3, first 2 shown]
	s_mul_hi_u32 s5, s3, s26
	s_add_i32 s8, s8, s2
	s_add_i32 s2, s5, s4
	s_mul_i32 s4, s8, s26
	s_mul_i32 s10, s3, s26
	s_add_i32 s9, s2, s4
	s_mov_b32 s2, exec_lo
	v_or_b32_e32 v3, s9, v5
	s_delay_alu instid0(VALU_DEP_1)
	v_cmpx_ne_u64_e32 0, v[2:3]
	s_xor_b32 s11, exec_lo, s2
	s_cbranch_execz .LBB10_3
; %bb.2:
	s_ashr_i32 s4, s9, 31
	s_delay_alu instid0(SALU_CYCLE_1) | instskip(SKIP_2) | instid1(SALU_CYCLE_1)
	s_add_u32 s6, s10, s4
	s_mov_b32 s5, s4
	s_addc_u32 s7, s9, s4
	s_xor_b64 s[6:7], s[6:7], s[4:5]
	s_delay_alu instid0(SALU_CYCLE_1) | instskip(SKIP_3) | instid1(VALU_DEP_1)
	v_cvt_f32_u32_e32 v0, s6
	v_cvt_f32_u32_e32 v1, s7
	s_sub_u32 s2, 0, s6
	s_subb_u32 s5, 0, s7
	v_fmamk_f32 v0, v1, 0x4f800000, v0
	s_delay_alu instid0(VALU_DEP_1) | instskip(SKIP_2) | instid1(VALU_DEP_1)
	v_rcp_f32_e32 v0, v0
	s_waitcnt_depctr 0xfff
	v_mul_f32_e32 v0, 0x5f7ffffc, v0
	v_mul_f32_e32 v1, 0x2f800000, v0
	s_delay_alu instid0(VALU_DEP_1) | instskip(NEXT) | instid1(VALU_DEP_1)
	v_trunc_f32_e32 v1, v1
	v_fmamk_f32 v0, v1, 0xcf800000, v0
	v_cvt_u32_f32_e32 v1, v1
	s_delay_alu instid0(VALU_DEP_2) | instskip(NEXT) | instid1(VALU_DEP_2)
	v_cvt_u32_f32_e32 v0, v0
	v_mul_lo_u32 v2, s2, v1
	s_delay_alu instid0(VALU_DEP_2) | instskip(SKIP_1) | instid1(VALU_DEP_2)
	v_mul_hi_u32 v3, s2, v0
	v_mul_lo_u32 v6, s5, v0
	v_add_nc_u32_e32 v2, v3, v2
	v_mul_lo_u32 v3, s2, v0
	s_delay_alu instid0(VALU_DEP_2) | instskip(NEXT) | instid1(VALU_DEP_2)
	v_add_nc_u32_e32 v2, v2, v6
	v_mul_hi_u32 v6, v0, v3
	s_delay_alu instid0(VALU_DEP_2)
	v_mul_lo_u32 v7, v0, v2
	v_mul_hi_u32 v8, v0, v2
	v_mul_hi_u32 v9, v1, v3
	v_mul_lo_u32 v3, v1, v3
	v_mul_hi_u32 v10, v1, v2
	v_mul_lo_u32 v2, v1, v2
	v_add_co_u32 v6, vcc_lo, v6, v7
	v_add_co_ci_u32_e32 v7, vcc_lo, 0, v8, vcc_lo
	s_delay_alu instid0(VALU_DEP_2) | instskip(NEXT) | instid1(VALU_DEP_2)
	v_add_co_u32 v3, vcc_lo, v6, v3
	v_add_co_ci_u32_e32 v3, vcc_lo, v7, v9, vcc_lo
	v_add_co_ci_u32_e32 v6, vcc_lo, 0, v10, vcc_lo
	s_delay_alu instid0(VALU_DEP_2) | instskip(NEXT) | instid1(VALU_DEP_2)
	v_add_co_u32 v2, vcc_lo, v3, v2
	v_add_co_ci_u32_e32 v3, vcc_lo, 0, v6, vcc_lo
	s_delay_alu instid0(VALU_DEP_2) | instskip(NEXT) | instid1(VALU_DEP_2)
	v_add_co_u32 v0, vcc_lo, v0, v2
	v_add_co_ci_u32_e32 v1, vcc_lo, v1, v3, vcc_lo
	s_delay_alu instid0(VALU_DEP_2) | instskip(SKIP_1) | instid1(VALU_DEP_3)
	v_mul_hi_u32 v2, s2, v0
	v_mul_lo_u32 v6, s5, v0
	v_mul_lo_u32 v3, s2, v1
	s_delay_alu instid0(VALU_DEP_1) | instskip(SKIP_1) | instid1(VALU_DEP_2)
	v_add_nc_u32_e32 v2, v2, v3
	v_mul_lo_u32 v3, s2, v0
	v_add_nc_u32_e32 v2, v2, v6
	s_delay_alu instid0(VALU_DEP_2) | instskip(NEXT) | instid1(VALU_DEP_2)
	v_mul_hi_u32 v6, v0, v3
	v_mul_lo_u32 v7, v0, v2
	v_mul_hi_u32 v8, v0, v2
	v_mul_hi_u32 v9, v1, v3
	v_mul_lo_u32 v3, v1, v3
	v_mul_hi_u32 v10, v1, v2
	v_mul_lo_u32 v2, v1, v2
	v_add_co_u32 v6, vcc_lo, v6, v7
	v_add_co_ci_u32_e32 v7, vcc_lo, 0, v8, vcc_lo
	s_delay_alu instid0(VALU_DEP_2) | instskip(NEXT) | instid1(VALU_DEP_2)
	v_add_co_u32 v3, vcc_lo, v6, v3
	v_add_co_ci_u32_e32 v3, vcc_lo, v7, v9, vcc_lo
	v_add_co_ci_u32_e32 v6, vcc_lo, 0, v10, vcc_lo
	s_delay_alu instid0(VALU_DEP_2) | instskip(NEXT) | instid1(VALU_DEP_2)
	v_add_co_u32 v2, vcc_lo, v3, v2
	v_add_co_ci_u32_e32 v3, vcc_lo, 0, v6, vcc_lo
	s_delay_alu instid0(VALU_DEP_2) | instskip(NEXT) | instid1(VALU_DEP_2)
	v_add_co_u32 v6, vcc_lo, v0, v2
	v_add_co_ci_u32_e32 v8, vcc_lo, v1, v3, vcc_lo
	s_delay_alu instid0(VALU_DEP_2) | instskip(SKIP_1) | instid1(VALU_DEP_3)
	v_mul_hi_u32 v9, v4, v6
	v_mad_u64_u32 v[2:3], null, v5, v6, 0
	v_mad_u64_u32 v[0:1], null, v4, v8, 0
	;; [unrolled: 1-line block ×3, first 2 shown]
	s_delay_alu instid0(VALU_DEP_2) | instskip(NEXT) | instid1(VALU_DEP_3)
	v_add_co_u32 v0, vcc_lo, v9, v0
	v_add_co_ci_u32_e32 v1, vcc_lo, 0, v1, vcc_lo
	s_delay_alu instid0(VALU_DEP_2) | instskip(NEXT) | instid1(VALU_DEP_2)
	v_add_co_u32 v0, vcc_lo, v0, v2
	v_add_co_ci_u32_e32 v0, vcc_lo, v1, v3, vcc_lo
	v_add_co_ci_u32_e32 v1, vcc_lo, 0, v7, vcc_lo
	s_delay_alu instid0(VALU_DEP_2) | instskip(NEXT) | instid1(VALU_DEP_2)
	v_add_co_u32 v2, vcc_lo, v0, v6
	v_add_co_ci_u32_e32 v3, vcc_lo, 0, v1, vcc_lo
	s_delay_alu instid0(VALU_DEP_2) | instskip(SKIP_1) | instid1(VALU_DEP_3)
	v_mul_lo_u32 v6, s7, v2
	v_mad_u64_u32 v[0:1], null, s6, v2, 0
	v_mul_lo_u32 v7, s6, v3
	s_delay_alu instid0(VALU_DEP_2) | instskip(NEXT) | instid1(VALU_DEP_2)
	v_sub_co_u32 v0, vcc_lo, v4, v0
	v_add3_u32 v1, v1, v7, v6
	s_delay_alu instid0(VALU_DEP_1) | instskip(NEXT) | instid1(VALU_DEP_1)
	v_sub_nc_u32_e32 v6, v5, v1
	v_subrev_co_ci_u32_e64 v6, s2, s7, v6, vcc_lo
	v_add_co_u32 v7, s2, v2, 2
	s_delay_alu instid0(VALU_DEP_1) | instskip(SKIP_3) | instid1(VALU_DEP_3)
	v_add_co_ci_u32_e64 v8, s2, 0, v3, s2
	v_sub_co_u32 v9, s2, v0, s6
	v_sub_co_ci_u32_e32 v1, vcc_lo, v5, v1, vcc_lo
	v_subrev_co_ci_u32_e64 v6, s2, 0, v6, s2
	v_cmp_le_u32_e32 vcc_lo, s6, v9
	s_delay_alu instid0(VALU_DEP_3) | instskip(SKIP_1) | instid1(VALU_DEP_4)
	v_cmp_eq_u32_e64 s2, s7, v1
	v_cndmask_b32_e64 v9, 0, -1, vcc_lo
	v_cmp_le_u32_e32 vcc_lo, s7, v6
	v_cndmask_b32_e64 v10, 0, -1, vcc_lo
	v_cmp_le_u32_e32 vcc_lo, s6, v0
	;; [unrolled: 2-line block ×3, first 2 shown]
	v_cndmask_b32_e64 v11, 0, -1, vcc_lo
	v_cmp_eq_u32_e32 vcc_lo, s7, v6
	s_delay_alu instid0(VALU_DEP_2) | instskip(SKIP_3) | instid1(VALU_DEP_3)
	v_cndmask_b32_e64 v0, v11, v0, s2
	v_cndmask_b32_e32 v6, v10, v9, vcc_lo
	v_add_co_u32 v9, vcc_lo, v2, 1
	v_add_co_ci_u32_e32 v10, vcc_lo, 0, v3, vcc_lo
	v_cmp_ne_u32_e32 vcc_lo, 0, v6
	s_delay_alu instid0(VALU_DEP_2) | instskip(SKIP_1) | instid1(VALU_DEP_2)
	v_dual_cndmask_b32 v1, v10, v8 :: v_dual_cndmask_b32 v6, v9, v7
	v_cmp_ne_u32_e32 vcc_lo, 0, v0
	v_dual_cndmask_b32 v0, v3, v1 :: v_dual_cndmask_b32 v1, v2, v6
	s_delay_alu instid0(VALU_DEP_1) | instskip(NEXT) | instid1(VALU_DEP_2)
	v_xor_b32_e32 v2, s4, v0
	v_xor_b32_e32 v1, s4, v1
	s_delay_alu instid0(VALU_DEP_1) | instskip(NEXT) | instid1(VALU_DEP_3)
	v_sub_co_u32 v0, vcc_lo, v1, s4
	v_subrev_co_ci_u32_e32 v1, vcc_lo, s4, v2, vcc_lo
.LBB10_3:
	s_and_not1_saveexec_b32 s2, s11
	s_cbranch_execz .LBB10_5
; %bb.4:
	v_cvt_f32_u32_e32 v0, s10
	s_sub_i32 s4, 0, s10
	s_delay_alu instid0(VALU_DEP_1) | instskip(SKIP_2) | instid1(VALU_DEP_1)
	v_rcp_iflag_f32_e32 v0, v0
	s_waitcnt_depctr 0xfff
	v_mul_f32_e32 v0, 0x4f7ffffe, v0
	v_cvt_u32_f32_e32 v0, v0
	s_delay_alu instid0(VALU_DEP_1) | instskip(NEXT) | instid1(VALU_DEP_1)
	v_mul_lo_u32 v1, s4, v0
	v_mul_hi_u32 v1, v0, v1
	s_delay_alu instid0(VALU_DEP_1) | instskip(NEXT) | instid1(VALU_DEP_1)
	v_add_nc_u32_e32 v0, v0, v1
	v_mul_hi_u32 v0, v4, v0
	s_delay_alu instid0(VALU_DEP_1) | instskip(SKIP_1) | instid1(VALU_DEP_2)
	v_mul_lo_u32 v1, v0, s10
	v_add_nc_u32_e32 v2, 1, v0
	v_sub_nc_u32_e32 v1, v4, v1
	s_delay_alu instid0(VALU_DEP_1) | instskip(SKIP_1) | instid1(VALU_DEP_2)
	v_subrev_nc_u32_e32 v3, s10, v1
	v_cmp_le_u32_e32 vcc_lo, s10, v1
	v_dual_cndmask_b32 v1, v1, v3 :: v_dual_cndmask_b32 v0, v0, v2
	s_delay_alu instid0(VALU_DEP_1) | instskip(NEXT) | instid1(VALU_DEP_2)
	v_cmp_le_u32_e32 vcc_lo, s10, v1
	v_dual_mov_b32 v1, 0 :: v_dual_add_nc_u32 v2, 1, v0
	s_delay_alu instid0(VALU_DEP_1)
	v_cndmask_b32_e32 v0, v0, v2, vcc_lo
.LBB10_5:
	s_or_b32 exec_lo, exec_lo, s2
	s_delay_alu instid0(VALU_DEP_1) | instskip(NEXT) | instid1(VALU_DEP_2)
	v_mul_lo_u32 v6, s9, v0
	v_mul_lo_u32 v7, s10, v1
	v_mad_u64_u32 v[2:3], null, s10, v0, 0
	s_delay_alu instid0(VALU_DEP_1) | instskip(NEXT) | instid1(VALU_DEP_2)
	v_add3_u32 v3, v3, v7, v6
	v_sub_co_u32 v6, vcc_lo, v4, v2
	v_mov_b32_e32 v2, 0
	s_delay_alu instid0(VALU_DEP_3) | instskip(NEXT) | instid1(VALU_DEP_1)
	v_sub_co_ci_u32_e32 v7, vcc_lo, v5, v3, vcc_lo
	v_or_b32_e32 v3, s8, v7
	s_delay_alu instid0(VALU_DEP_1) | instskip(SKIP_1) | instid1(SALU_CYCLE_1)
	v_cmp_ne_u64_e32 vcc_lo, 0, v[2:3]
                                        ; implicit-def: $vgpr2_vgpr3
	s_and_saveexec_b32 s2, vcc_lo
	s_xor_b32 s9, exec_lo, s2
	s_cbranch_execz .LBB10_7
; %bb.6:
	s_ashr_i32 s4, s8, 31
	s_delay_alu instid0(SALU_CYCLE_1) | instskip(SKIP_2) | instid1(SALU_CYCLE_1)
	s_add_u32 s6, s3, s4
	s_mov_b32 s5, s4
	s_addc_u32 s7, s8, s4
	s_xor_b64 s[6:7], s[6:7], s[4:5]
	s_delay_alu instid0(SALU_CYCLE_1) | instskip(SKIP_3) | instid1(VALU_DEP_1)
	v_cvt_f32_u32_e32 v2, s6
	v_cvt_f32_u32_e32 v3, s7
	s_sub_u32 s2, 0, s6
	s_subb_u32 s5, 0, s7
	v_fmamk_f32 v2, v3, 0x4f800000, v2
	s_delay_alu instid0(VALU_DEP_1) | instskip(SKIP_2) | instid1(VALU_DEP_1)
	v_rcp_f32_e32 v2, v2
	s_waitcnt_depctr 0xfff
	v_mul_f32_e32 v2, 0x5f7ffffc, v2
	v_mul_f32_e32 v3, 0x2f800000, v2
	s_delay_alu instid0(VALU_DEP_1) | instskip(NEXT) | instid1(VALU_DEP_1)
	v_trunc_f32_e32 v3, v3
	v_fmamk_f32 v2, v3, 0xcf800000, v2
	v_cvt_u32_f32_e32 v3, v3
	s_delay_alu instid0(VALU_DEP_2) | instskip(NEXT) | instid1(VALU_DEP_2)
	v_cvt_u32_f32_e32 v2, v2
	v_mul_lo_u32 v8, s2, v3
	s_delay_alu instid0(VALU_DEP_2) | instskip(SKIP_1) | instid1(VALU_DEP_2)
	v_mul_hi_u32 v9, s2, v2
	v_mul_lo_u32 v10, s5, v2
	v_add_nc_u32_e32 v8, v9, v8
	v_mul_lo_u32 v9, s2, v2
	s_delay_alu instid0(VALU_DEP_2) | instskip(NEXT) | instid1(VALU_DEP_2)
	v_add_nc_u32_e32 v8, v8, v10
	v_mul_hi_u32 v10, v2, v9
	s_delay_alu instid0(VALU_DEP_2)
	v_mul_lo_u32 v11, v2, v8
	v_mul_hi_u32 v12, v2, v8
	v_mul_hi_u32 v13, v3, v9
	v_mul_lo_u32 v9, v3, v9
	v_mul_hi_u32 v14, v3, v8
	v_mul_lo_u32 v8, v3, v8
	v_add_co_u32 v10, vcc_lo, v10, v11
	v_add_co_ci_u32_e32 v11, vcc_lo, 0, v12, vcc_lo
	s_delay_alu instid0(VALU_DEP_2) | instskip(NEXT) | instid1(VALU_DEP_2)
	v_add_co_u32 v9, vcc_lo, v10, v9
	v_add_co_ci_u32_e32 v9, vcc_lo, v11, v13, vcc_lo
	v_add_co_ci_u32_e32 v10, vcc_lo, 0, v14, vcc_lo
	v_ashrrev_i32_e32 v13, 31, v7
	s_delay_alu instid0(VALU_DEP_3) | instskip(NEXT) | instid1(VALU_DEP_3)
	v_add_co_u32 v8, vcc_lo, v9, v8
	v_add_co_ci_u32_e32 v9, vcc_lo, 0, v10, vcc_lo
	s_delay_alu instid0(VALU_DEP_2) | instskip(NEXT) | instid1(VALU_DEP_2)
	v_add_co_u32 v2, vcc_lo, v2, v8
	v_add_co_ci_u32_e32 v3, vcc_lo, v3, v9, vcc_lo
	s_delay_alu instid0(VALU_DEP_2) | instskip(SKIP_1) | instid1(VALU_DEP_3)
	v_mul_hi_u32 v8, s2, v2
	v_mul_lo_u32 v10, s5, v2
	v_mul_lo_u32 v9, s2, v3
	s_delay_alu instid0(VALU_DEP_1) | instskip(SKIP_1) | instid1(VALU_DEP_2)
	v_add_nc_u32_e32 v8, v8, v9
	v_mul_lo_u32 v9, s2, v2
	v_add_nc_u32_e32 v8, v8, v10
	s_delay_alu instid0(VALU_DEP_2) | instskip(NEXT) | instid1(VALU_DEP_2)
	v_mul_hi_u32 v10, v2, v9
	v_mul_lo_u32 v11, v2, v8
	v_mul_hi_u32 v12, v2, v8
	v_mul_hi_u32 v14, v3, v9
	v_mul_lo_u32 v9, v3, v9
	v_mul_hi_u32 v15, v3, v8
	v_mul_lo_u32 v8, v3, v8
	v_add_co_u32 v10, vcc_lo, v10, v11
	v_add_co_ci_u32_e32 v11, vcc_lo, 0, v12, vcc_lo
	s_delay_alu instid0(VALU_DEP_2) | instskip(NEXT) | instid1(VALU_DEP_2)
	v_add_co_u32 v9, vcc_lo, v10, v9
	v_add_co_ci_u32_e32 v9, vcc_lo, v11, v14, vcc_lo
	v_add_co_ci_u32_e32 v10, vcc_lo, 0, v15, vcc_lo
	v_add_co_u32 v11, vcc_lo, v6, v13
	v_add_co_ci_u32_e32 v12, vcc_lo, v7, v13, vcc_lo
	s_delay_alu instid0(VALU_DEP_4) | instskip(NEXT) | instid1(VALU_DEP_4)
	v_add_co_u32 v8, vcc_lo, v9, v8
	v_add_co_ci_u32_e32 v9, vcc_lo, 0, v10, vcc_lo
	s_delay_alu instid0(VALU_DEP_4) | instskip(NEXT) | instid1(VALU_DEP_3)
	v_xor_b32_e32 v14, v11, v13
	v_add_co_u32 v10, vcc_lo, v2, v8
	s_delay_alu instid0(VALU_DEP_3) | instskip(SKIP_1) | instid1(VALU_DEP_3)
	v_add_co_ci_u32_e32 v15, vcc_lo, v3, v9, vcc_lo
	v_xor_b32_e32 v12, v12, v13
	v_mul_hi_u32 v16, v14, v10
	s_delay_alu instid0(VALU_DEP_3) | instskip(NEXT) | instid1(VALU_DEP_3)
	v_mad_u64_u32 v[2:3], null, v14, v15, 0
	v_mad_u64_u32 v[8:9], null, v12, v10, 0
	;; [unrolled: 1-line block ×3, first 2 shown]
	s_delay_alu instid0(VALU_DEP_3) | instskip(NEXT) | instid1(VALU_DEP_4)
	v_add_co_u32 v2, vcc_lo, v16, v2
	v_add_co_ci_u32_e32 v3, vcc_lo, 0, v3, vcc_lo
	s_delay_alu instid0(VALU_DEP_2) | instskip(NEXT) | instid1(VALU_DEP_2)
	v_add_co_u32 v2, vcc_lo, v2, v8
	v_add_co_ci_u32_e32 v2, vcc_lo, v3, v9, vcc_lo
	v_add_co_ci_u32_e32 v3, vcc_lo, 0, v11, vcc_lo
	s_delay_alu instid0(VALU_DEP_2) | instskip(NEXT) | instid1(VALU_DEP_2)
	v_add_co_u32 v8, vcc_lo, v2, v10
	v_add_co_ci_u32_e32 v9, vcc_lo, 0, v3, vcc_lo
	s_delay_alu instid0(VALU_DEP_2) | instskip(SKIP_1) | instid1(VALU_DEP_3)
	v_mul_lo_u32 v10, s7, v8
	v_mad_u64_u32 v[2:3], null, s6, v8, 0
	v_mul_lo_u32 v11, s6, v9
	s_delay_alu instid0(VALU_DEP_2) | instskip(NEXT) | instid1(VALU_DEP_2)
	v_sub_co_u32 v2, vcc_lo, v14, v2
	v_add3_u32 v3, v3, v11, v10
	s_delay_alu instid0(VALU_DEP_1) | instskip(NEXT) | instid1(VALU_DEP_1)
	v_sub_nc_u32_e32 v10, v12, v3
	v_subrev_co_ci_u32_e64 v10, s2, s7, v10, vcc_lo
	v_add_co_u32 v11, s2, v8, 2
	s_delay_alu instid0(VALU_DEP_1) | instskip(SKIP_3) | instid1(VALU_DEP_3)
	v_add_co_ci_u32_e64 v14, s2, 0, v9, s2
	v_sub_co_u32 v15, s2, v2, s6
	v_sub_co_ci_u32_e32 v3, vcc_lo, v12, v3, vcc_lo
	v_subrev_co_ci_u32_e64 v10, s2, 0, v10, s2
	v_cmp_le_u32_e32 vcc_lo, s6, v15
	s_delay_alu instid0(VALU_DEP_3) | instskip(SKIP_1) | instid1(VALU_DEP_4)
	v_cmp_eq_u32_e64 s2, s7, v3
	v_cndmask_b32_e64 v12, 0, -1, vcc_lo
	v_cmp_le_u32_e32 vcc_lo, s7, v10
	v_cndmask_b32_e64 v15, 0, -1, vcc_lo
	v_cmp_le_u32_e32 vcc_lo, s6, v2
	;; [unrolled: 2-line block ×3, first 2 shown]
	v_cndmask_b32_e64 v16, 0, -1, vcc_lo
	v_cmp_eq_u32_e32 vcc_lo, s7, v10
	s_delay_alu instid0(VALU_DEP_2) | instskip(SKIP_3) | instid1(VALU_DEP_3)
	v_cndmask_b32_e64 v2, v16, v2, s2
	v_cndmask_b32_e32 v10, v15, v12, vcc_lo
	v_add_co_u32 v12, vcc_lo, v8, 1
	v_add_co_ci_u32_e32 v15, vcc_lo, 0, v9, vcc_lo
	v_cmp_ne_u32_e32 vcc_lo, 0, v10
	s_delay_alu instid0(VALU_DEP_2) | instskip(SKIP_2) | instid1(VALU_DEP_3)
	v_dual_cndmask_b32 v3, v15, v14 :: v_dual_cndmask_b32 v10, v12, v11
	v_cmp_ne_u32_e32 vcc_lo, 0, v2
	v_xor_b32_e32 v11, s4, v13
	v_dual_cndmask_b32 v2, v9, v3 :: v_dual_cndmask_b32 v3, v8, v10
	s_delay_alu instid0(VALU_DEP_1) | instskip(NEXT) | instid1(VALU_DEP_2)
	v_xor_b32_e32 v8, v2, v11
	v_xor_b32_e32 v3, v3, v11
	s_delay_alu instid0(VALU_DEP_1) | instskip(NEXT) | instid1(VALU_DEP_3)
	v_sub_co_u32 v2, vcc_lo, v3, v11
	v_sub_co_ci_u32_e32 v3, vcc_lo, v8, v11, vcc_lo
.LBB10_7:
	s_and_not1_saveexec_b32 s2, s9
	s_cbranch_execz .LBB10_9
; %bb.8:
	v_cvt_f32_u32_e32 v2, s3
	s_sub_i32 s4, 0, s3
	s_delay_alu instid0(VALU_DEP_1) | instskip(SKIP_2) | instid1(VALU_DEP_1)
	v_rcp_iflag_f32_e32 v2, v2
	s_waitcnt_depctr 0xfff
	v_mul_f32_e32 v2, 0x4f7ffffe, v2
	v_cvt_u32_f32_e32 v2, v2
	s_delay_alu instid0(VALU_DEP_1) | instskip(NEXT) | instid1(VALU_DEP_1)
	v_mul_lo_u32 v3, s4, v2
	v_mul_hi_u32 v3, v2, v3
	s_delay_alu instid0(VALU_DEP_1) | instskip(NEXT) | instid1(VALU_DEP_1)
	v_add_nc_u32_e32 v2, v2, v3
	v_mul_hi_u32 v2, v6, v2
	s_delay_alu instid0(VALU_DEP_1) | instskip(SKIP_1) | instid1(VALU_DEP_2)
	v_mul_lo_u32 v3, v2, s3
	v_add_nc_u32_e32 v8, 1, v2
	v_sub_nc_u32_e32 v3, v6, v3
	s_delay_alu instid0(VALU_DEP_1) | instskip(SKIP_1) | instid1(VALU_DEP_2)
	v_subrev_nc_u32_e32 v9, s3, v3
	v_cmp_le_u32_e32 vcc_lo, s3, v3
	v_dual_cndmask_b32 v3, v3, v9 :: v_dual_cndmask_b32 v2, v2, v8
	s_delay_alu instid0(VALU_DEP_1) | instskip(NEXT) | instid1(VALU_DEP_2)
	v_cmp_le_u32_e32 vcc_lo, s3, v3
	v_dual_mov_b32 v3, 0 :: v_dual_add_nc_u32 v8, 1, v2
	s_delay_alu instid0(VALU_DEP_1)
	v_cndmask_b32_e32 v2, v2, v8, vcc_lo
.LBB10_9:
	s_or_b32 exec_lo, exec_lo, s2
	s_delay_alu instid0(VALU_DEP_1) | instskip(NEXT) | instid1(VALU_DEP_2)
	v_mul_lo_u32 v10, s8, v2
	v_mul_lo_u32 v11, s3, v3
	v_mad_u64_u32 v[8:9], null, s3, v2, 0
	s_mov_b32 s2, exec_lo
	s_delay_alu instid0(VALU_DEP_1) | instskip(NEXT) | instid1(VALU_DEP_2)
	v_add3_u32 v9, v9, v11, v10
	v_sub_co_u32 v12, vcc_lo, v6, v8
	v_mov_b32_e32 v6, 0
	s_delay_alu instid0(VALU_DEP_3) | instskip(NEXT) | instid1(VALU_DEP_1)
	v_sub_co_ci_u32_e32 v13, vcc_lo, v7, v9, vcc_lo
                                        ; implicit-def: $vgpr8_vgpr9
	v_or_b32_e32 v7, s23, v13
	s_delay_alu instid0(VALU_DEP_1)
	v_cmpx_ne_u64_e32 0, v[6:7]
	s_xor_b32 s3, exec_lo, s2
	s_cbranch_execz .LBB10_11
; %bb.10:
	s_ashr_i32 s4, s23, 31
	s_delay_alu instid0(SALU_CYCLE_1) | instskip(SKIP_2) | instid1(SALU_CYCLE_1)
	s_add_u32 s6, s22, s4
	s_mov_b32 s5, s4
	s_addc_u32 s7, s23, s4
	s_xor_b64 s[6:7], s[6:7], s[4:5]
	s_delay_alu instid0(SALU_CYCLE_1) | instskip(SKIP_3) | instid1(VALU_DEP_1)
	v_cvt_f32_u32_e32 v6, s6
	v_cvt_f32_u32_e32 v7, s7
	s_sub_u32 s2, 0, s6
	s_subb_u32 s5, 0, s7
	v_fmamk_f32 v6, v7, 0x4f800000, v6
	s_delay_alu instid0(VALU_DEP_1) | instskip(SKIP_2) | instid1(VALU_DEP_1)
	v_rcp_f32_e32 v6, v6
	s_waitcnt_depctr 0xfff
	v_mul_f32_e32 v6, 0x5f7ffffc, v6
	v_mul_f32_e32 v7, 0x2f800000, v6
	s_delay_alu instid0(VALU_DEP_1) | instskip(NEXT) | instid1(VALU_DEP_1)
	v_trunc_f32_e32 v7, v7
	v_fmamk_f32 v6, v7, 0xcf800000, v6
	v_cvt_u32_f32_e32 v7, v7
	s_delay_alu instid0(VALU_DEP_2) | instskip(NEXT) | instid1(VALU_DEP_2)
	v_cvt_u32_f32_e32 v6, v6
	v_mul_lo_u32 v8, s2, v7
	s_delay_alu instid0(VALU_DEP_2) | instskip(SKIP_1) | instid1(VALU_DEP_2)
	v_mul_hi_u32 v9, s2, v6
	v_mul_lo_u32 v10, s5, v6
	v_add_nc_u32_e32 v8, v9, v8
	v_mul_lo_u32 v9, s2, v6
	s_delay_alu instid0(VALU_DEP_2) | instskip(NEXT) | instid1(VALU_DEP_2)
	v_add_nc_u32_e32 v8, v8, v10
	v_mul_hi_u32 v10, v6, v9
	s_delay_alu instid0(VALU_DEP_2)
	v_mul_lo_u32 v11, v6, v8
	v_mul_hi_u32 v14, v6, v8
	v_mul_hi_u32 v15, v7, v9
	v_mul_lo_u32 v9, v7, v9
	v_mul_hi_u32 v16, v7, v8
	v_mul_lo_u32 v8, v7, v8
	v_add_co_u32 v10, vcc_lo, v10, v11
	v_add_co_ci_u32_e32 v11, vcc_lo, 0, v14, vcc_lo
	s_delay_alu instid0(VALU_DEP_2) | instskip(NEXT) | instid1(VALU_DEP_2)
	v_add_co_u32 v9, vcc_lo, v10, v9
	v_add_co_ci_u32_e32 v9, vcc_lo, v11, v15, vcc_lo
	v_add_co_ci_u32_e32 v10, vcc_lo, 0, v16, vcc_lo
	v_ashrrev_i32_e32 v15, 31, v13
	s_delay_alu instid0(VALU_DEP_3) | instskip(NEXT) | instid1(VALU_DEP_3)
	v_add_co_u32 v8, vcc_lo, v9, v8
	v_add_co_ci_u32_e32 v9, vcc_lo, 0, v10, vcc_lo
	s_delay_alu instid0(VALU_DEP_2) | instskip(NEXT) | instid1(VALU_DEP_2)
	v_add_co_u32 v6, vcc_lo, v6, v8
	v_add_co_ci_u32_e32 v7, vcc_lo, v7, v9, vcc_lo
	s_delay_alu instid0(VALU_DEP_2) | instskip(SKIP_1) | instid1(VALU_DEP_3)
	v_mul_hi_u32 v8, s2, v6
	v_mul_lo_u32 v10, s5, v6
	v_mul_lo_u32 v9, s2, v7
	s_delay_alu instid0(VALU_DEP_1) | instskip(SKIP_1) | instid1(VALU_DEP_2)
	v_add_nc_u32_e32 v8, v8, v9
	v_mul_lo_u32 v9, s2, v6
	v_add_nc_u32_e32 v8, v8, v10
	s_delay_alu instid0(VALU_DEP_2) | instskip(NEXT) | instid1(VALU_DEP_2)
	v_mul_hi_u32 v10, v6, v9
	v_mul_lo_u32 v11, v6, v8
	v_mul_hi_u32 v14, v6, v8
	v_mul_hi_u32 v16, v7, v9
	v_mul_lo_u32 v9, v7, v9
	v_mul_hi_u32 v17, v7, v8
	v_mul_lo_u32 v8, v7, v8
	v_add_co_u32 v10, vcc_lo, v10, v11
	v_add_co_ci_u32_e32 v11, vcc_lo, 0, v14, vcc_lo
	s_delay_alu instid0(VALU_DEP_2) | instskip(NEXT) | instid1(VALU_DEP_2)
	v_add_co_u32 v9, vcc_lo, v10, v9
	v_add_co_ci_u32_e32 v9, vcc_lo, v11, v16, vcc_lo
	v_add_co_ci_u32_e32 v10, vcc_lo, 0, v17, vcc_lo
	v_add_co_u32 v11, vcc_lo, v12, v15
	v_add_co_ci_u32_e32 v14, vcc_lo, v13, v15, vcc_lo
	s_delay_alu instid0(VALU_DEP_4) | instskip(NEXT) | instid1(VALU_DEP_4)
	v_add_co_u32 v8, vcc_lo, v9, v8
	v_add_co_ci_u32_e32 v9, vcc_lo, 0, v10, vcc_lo
	s_delay_alu instid0(VALU_DEP_4) | instskip(NEXT) | instid1(VALU_DEP_3)
	v_xor_b32_e32 v16, v11, v15
	v_add_co_u32 v10, vcc_lo, v6, v8
	s_delay_alu instid0(VALU_DEP_3) | instskip(SKIP_1) | instid1(VALU_DEP_3)
	v_add_co_ci_u32_e32 v17, vcc_lo, v7, v9, vcc_lo
	v_xor_b32_e32 v14, v14, v15
	v_mul_hi_u32 v18, v16, v10
	s_delay_alu instid0(VALU_DEP_3) | instskip(NEXT) | instid1(VALU_DEP_3)
	v_mad_u64_u32 v[6:7], null, v16, v17, 0
	v_mad_u64_u32 v[8:9], null, v14, v10, 0
	;; [unrolled: 1-line block ×3, first 2 shown]
	s_delay_alu instid0(VALU_DEP_3) | instskip(NEXT) | instid1(VALU_DEP_4)
	v_add_co_u32 v6, vcc_lo, v18, v6
	v_add_co_ci_u32_e32 v7, vcc_lo, 0, v7, vcc_lo
	s_delay_alu instid0(VALU_DEP_2) | instskip(NEXT) | instid1(VALU_DEP_2)
	v_add_co_u32 v6, vcc_lo, v6, v8
	v_add_co_ci_u32_e32 v6, vcc_lo, v7, v9, vcc_lo
	v_add_co_ci_u32_e32 v7, vcc_lo, 0, v11, vcc_lo
	s_delay_alu instid0(VALU_DEP_2) | instskip(NEXT) | instid1(VALU_DEP_2)
	v_add_co_u32 v8, vcc_lo, v6, v10
	v_add_co_ci_u32_e32 v9, vcc_lo, 0, v7, vcc_lo
	s_delay_alu instid0(VALU_DEP_2) | instskip(SKIP_1) | instid1(VALU_DEP_3)
	v_mul_lo_u32 v10, s7, v8
	v_mad_u64_u32 v[6:7], null, s6, v8, 0
	v_mul_lo_u32 v11, s6, v9
	s_delay_alu instid0(VALU_DEP_2) | instskip(NEXT) | instid1(VALU_DEP_2)
	v_sub_co_u32 v6, vcc_lo, v16, v6
	v_add3_u32 v7, v7, v11, v10
	s_delay_alu instid0(VALU_DEP_1) | instskip(NEXT) | instid1(VALU_DEP_1)
	v_sub_nc_u32_e32 v10, v14, v7
	v_subrev_co_ci_u32_e64 v10, s2, s7, v10, vcc_lo
	v_add_co_u32 v11, s2, v8, 2
	s_delay_alu instid0(VALU_DEP_1) | instskip(SKIP_3) | instid1(VALU_DEP_3)
	v_add_co_ci_u32_e64 v16, s2, 0, v9, s2
	v_sub_co_u32 v17, s2, v6, s6
	v_sub_co_ci_u32_e32 v7, vcc_lo, v14, v7, vcc_lo
	v_subrev_co_ci_u32_e64 v10, s2, 0, v10, s2
	v_cmp_le_u32_e32 vcc_lo, s6, v17
	s_delay_alu instid0(VALU_DEP_3) | instskip(SKIP_1) | instid1(VALU_DEP_4)
	v_cmp_eq_u32_e64 s2, s7, v7
	v_cndmask_b32_e64 v14, 0, -1, vcc_lo
	v_cmp_le_u32_e32 vcc_lo, s7, v10
	v_cndmask_b32_e64 v17, 0, -1, vcc_lo
	v_cmp_le_u32_e32 vcc_lo, s6, v6
	;; [unrolled: 2-line block ×3, first 2 shown]
	v_cndmask_b32_e64 v18, 0, -1, vcc_lo
	v_cmp_eq_u32_e32 vcc_lo, s7, v10
	s_delay_alu instid0(VALU_DEP_2) | instskip(SKIP_3) | instid1(VALU_DEP_3)
	v_cndmask_b32_e64 v6, v18, v6, s2
	v_cndmask_b32_e32 v10, v17, v14, vcc_lo
	v_add_co_u32 v14, vcc_lo, v8, 1
	v_add_co_ci_u32_e32 v17, vcc_lo, 0, v9, vcc_lo
	v_cmp_ne_u32_e32 vcc_lo, 0, v10
	s_delay_alu instid0(VALU_DEP_2) | instskip(SKIP_2) | instid1(VALU_DEP_3)
	v_dual_cndmask_b32 v7, v17, v16 :: v_dual_cndmask_b32 v10, v14, v11
	v_cmp_ne_u32_e32 vcc_lo, 0, v6
	v_xor_b32_e32 v6, s4, v15
	v_dual_cndmask_b32 v8, v8, v10 :: v_dual_cndmask_b32 v7, v9, v7
	s_delay_alu instid0(VALU_DEP_1) | instskip(NEXT) | instid1(VALU_DEP_2)
	v_xor_b32_e32 v8, v8, v6
	v_xor_b32_e32 v7, v7, v6
	s_delay_alu instid0(VALU_DEP_2) | instskip(NEXT) | instid1(VALU_DEP_2)
	v_sub_co_u32 v8, vcc_lo, v8, v6
	v_sub_co_ci_u32_e32 v9, vcc_lo, v7, v6, vcc_lo
.LBB10_11:
	s_and_not1_saveexec_b32 s2, s3
	s_cbranch_execz .LBB10_13
; %bb.12:
	v_cvt_f32_u32_e32 v6, s22
	s_sub_i32 s3, 0, s22
	s_delay_alu instid0(VALU_DEP_1) | instskip(SKIP_2) | instid1(VALU_DEP_1)
	v_rcp_iflag_f32_e32 v6, v6
	s_waitcnt_depctr 0xfff
	v_mul_f32_e32 v6, 0x4f7ffffe, v6
	v_cvt_u32_f32_e32 v6, v6
	s_delay_alu instid0(VALU_DEP_1) | instskip(NEXT) | instid1(VALU_DEP_1)
	v_mul_lo_u32 v7, s3, v6
	v_mul_hi_u32 v7, v6, v7
	s_delay_alu instid0(VALU_DEP_1) | instskip(NEXT) | instid1(VALU_DEP_1)
	v_add_nc_u32_e32 v6, v6, v7
	v_mul_hi_u32 v6, v12, v6
	s_delay_alu instid0(VALU_DEP_1) | instskip(SKIP_1) | instid1(VALU_DEP_2)
	v_mul_lo_u32 v7, v6, s22
	v_add_nc_u32_e32 v8, 1, v6
	v_sub_nc_u32_e32 v7, v12, v7
	s_delay_alu instid0(VALU_DEP_1) | instskip(SKIP_1) | instid1(VALU_DEP_2)
	v_subrev_nc_u32_e32 v9, s22, v7
	v_cmp_le_u32_e32 vcc_lo, s22, v7
	v_cndmask_b32_e32 v7, v7, v9, vcc_lo
	v_dual_mov_b32 v9, 0 :: v_dual_cndmask_b32 v6, v6, v8
	s_delay_alu instid0(VALU_DEP_2) | instskip(NEXT) | instid1(VALU_DEP_2)
	v_cmp_le_u32_e32 vcc_lo, s22, v7
	v_add_nc_u32_e32 v8, 1, v6
	s_delay_alu instid0(VALU_DEP_1)
	v_cndmask_b32_e32 v8, v6, v8, vcc_lo
.LBB10_13:
	s_or_b32 exec_lo, exec_lo, s2
	s_load_b512 s[36:51], s[0:1], 0x40
	v_mov_b32_e32 v6, 0
	s_waitcnt lgkmcnt(0)
	s_mul_i32 s2, s42, s41
	s_mul_hi_u32 s4, s42, s40
	s_mul_i32 s5, s43, s40
	s_mul_i32 s3, s42, s40
	s_add_i32 s8, s4, s2
	s_mul_i32 s2, s3, s45
	s_mul_hi_u32 s4, s3, s44
	s_add_i32 s8, s8, s5
	s_add_i32 s2, s4, s2
	s_mul_i32 s4, s8, s44
	s_mul_i32 s10, s3, s44
	s_add_i32 s9, s2, s4
	s_delay_alu instid0(SALU_CYCLE_1) | instskip(NEXT) | instid1(VALU_DEP_1)
	v_or_b32_e32 v7, s9, v5
	v_cmp_ne_u64_e32 vcc_lo, 0, v[6:7]
                                        ; implicit-def: $vgpr6_vgpr7
	s_and_saveexec_b32 s2, vcc_lo
	s_delay_alu instid0(SALU_CYCLE_1)
	s_xor_b32 s11, exec_lo, s2
	s_cbranch_execz .LBB10_15
; %bb.14:
	s_ashr_i32 s4, s9, 31
	s_delay_alu instid0(SALU_CYCLE_1) | instskip(SKIP_2) | instid1(SALU_CYCLE_1)
	s_add_u32 s6, s10, s4
	s_mov_b32 s5, s4
	s_addc_u32 s7, s9, s4
	s_xor_b64 s[6:7], s[6:7], s[4:5]
	s_delay_alu instid0(SALU_CYCLE_1) | instskip(SKIP_3) | instid1(VALU_DEP_1)
	v_cvt_f32_u32_e32 v6, s6
	v_cvt_f32_u32_e32 v7, s7
	s_sub_u32 s2, 0, s6
	s_subb_u32 s5, 0, s7
	v_fmamk_f32 v6, v7, 0x4f800000, v6
	s_delay_alu instid0(VALU_DEP_1) | instskip(SKIP_2) | instid1(VALU_DEP_1)
	v_rcp_f32_e32 v6, v6
	s_waitcnt_depctr 0xfff
	v_mul_f32_e32 v6, 0x5f7ffffc, v6
	v_mul_f32_e32 v7, 0x2f800000, v6
	s_delay_alu instid0(VALU_DEP_1) | instskip(NEXT) | instid1(VALU_DEP_1)
	v_trunc_f32_e32 v7, v7
	v_fmamk_f32 v6, v7, 0xcf800000, v6
	v_cvt_u32_f32_e32 v7, v7
	s_delay_alu instid0(VALU_DEP_2) | instskip(NEXT) | instid1(VALU_DEP_2)
	v_cvt_u32_f32_e32 v6, v6
	v_mul_lo_u32 v10, s2, v7
	s_delay_alu instid0(VALU_DEP_2) | instskip(SKIP_1) | instid1(VALU_DEP_2)
	v_mul_hi_u32 v11, s2, v6
	v_mul_lo_u32 v14, s5, v6
	v_add_nc_u32_e32 v10, v11, v10
	v_mul_lo_u32 v11, s2, v6
	s_delay_alu instid0(VALU_DEP_2) | instskip(NEXT) | instid1(VALU_DEP_2)
	v_add_nc_u32_e32 v10, v10, v14
	v_mul_hi_u32 v14, v6, v11
	s_delay_alu instid0(VALU_DEP_2)
	v_mul_lo_u32 v15, v6, v10
	v_mul_hi_u32 v16, v6, v10
	v_mul_hi_u32 v17, v7, v11
	v_mul_lo_u32 v11, v7, v11
	v_mul_hi_u32 v18, v7, v10
	v_mul_lo_u32 v10, v7, v10
	v_add_co_u32 v14, vcc_lo, v14, v15
	v_add_co_ci_u32_e32 v15, vcc_lo, 0, v16, vcc_lo
	s_delay_alu instid0(VALU_DEP_2) | instskip(NEXT) | instid1(VALU_DEP_2)
	v_add_co_u32 v11, vcc_lo, v14, v11
	v_add_co_ci_u32_e32 v11, vcc_lo, v15, v17, vcc_lo
	v_add_co_ci_u32_e32 v14, vcc_lo, 0, v18, vcc_lo
	s_delay_alu instid0(VALU_DEP_2) | instskip(NEXT) | instid1(VALU_DEP_2)
	v_add_co_u32 v10, vcc_lo, v11, v10
	v_add_co_ci_u32_e32 v11, vcc_lo, 0, v14, vcc_lo
	s_delay_alu instid0(VALU_DEP_2) | instskip(NEXT) | instid1(VALU_DEP_2)
	v_add_co_u32 v6, vcc_lo, v6, v10
	v_add_co_ci_u32_e32 v7, vcc_lo, v7, v11, vcc_lo
	s_delay_alu instid0(VALU_DEP_2) | instskip(SKIP_1) | instid1(VALU_DEP_3)
	v_mul_hi_u32 v10, s2, v6
	v_mul_lo_u32 v14, s5, v6
	v_mul_lo_u32 v11, s2, v7
	s_delay_alu instid0(VALU_DEP_1) | instskip(SKIP_1) | instid1(VALU_DEP_2)
	v_add_nc_u32_e32 v10, v10, v11
	v_mul_lo_u32 v11, s2, v6
	v_add_nc_u32_e32 v10, v10, v14
	s_delay_alu instid0(VALU_DEP_2) | instskip(NEXT) | instid1(VALU_DEP_2)
	v_mul_hi_u32 v14, v6, v11
	v_mul_lo_u32 v15, v6, v10
	v_mul_hi_u32 v16, v6, v10
	v_mul_hi_u32 v17, v7, v11
	v_mul_lo_u32 v11, v7, v11
	v_mul_hi_u32 v18, v7, v10
	v_mul_lo_u32 v10, v7, v10
	v_add_co_u32 v14, vcc_lo, v14, v15
	v_add_co_ci_u32_e32 v15, vcc_lo, 0, v16, vcc_lo
	s_delay_alu instid0(VALU_DEP_2) | instskip(NEXT) | instid1(VALU_DEP_2)
	v_add_co_u32 v11, vcc_lo, v14, v11
	v_add_co_ci_u32_e32 v11, vcc_lo, v15, v17, vcc_lo
	v_add_co_ci_u32_e32 v14, vcc_lo, 0, v18, vcc_lo
	s_delay_alu instid0(VALU_DEP_2) | instskip(NEXT) | instid1(VALU_DEP_2)
	v_add_co_u32 v10, vcc_lo, v11, v10
	v_add_co_ci_u32_e32 v11, vcc_lo, 0, v14, vcc_lo
	s_delay_alu instid0(VALU_DEP_2) | instskip(NEXT) | instid1(VALU_DEP_2)
	v_add_co_u32 v14, vcc_lo, v6, v10
	v_add_co_ci_u32_e32 v16, vcc_lo, v7, v11, vcc_lo
	s_delay_alu instid0(VALU_DEP_2) | instskip(SKIP_1) | instid1(VALU_DEP_3)
	v_mul_hi_u32 v17, v4, v14
	v_mad_u64_u32 v[10:11], null, v5, v14, 0
	v_mad_u64_u32 v[6:7], null, v4, v16, 0
	;; [unrolled: 1-line block ×3, first 2 shown]
	s_delay_alu instid0(VALU_DEP_2) | instskip(NEXT) | instid1(VALU_DEP_3)
	v_add_co_u32 v6, vcc_lo, v17, v6
	v_add_co_ci_u32_e32 v7, vcc_lo, 0, v7, vcc_lo
	s_delay_alu instid0(VALU_DEP_2) | instskip(NEXT) | instid1(VALU_DEP_2)
	v_add_co_u32 v6, vcc_lo, v6, v10
	v_add_co_ci_u32_e32 v6, vcc_lo, v7, v11, vcc_lo
	v_add_co_ci_u32_e32 v7, vcc_lo, 0, v15, vcc_lo
	s_delay_alu instid0(VALU_DEP_2) | instskip(NEXT) | instid1(VALU_DEP_2)
	v_add_co_u32 v10, vcc_lo, v6, v14
	v_add_co_ci_u32_e32 v11, vcc_lo, 0, v7, vcc_lo
	s_delay_alu instid0(VALU_DEP_2) | instskip(SKIP_1) | instid1(VALU_DEP_3)
	v_mul_lo_u32 v14, s7, v10
	v_mad_u64_u32 v[6:7], null, s6, v10, 0
	v_mul_lo_u32 v15, s6, v11
	s_delay_alu instid0(VALU_DEP_2) | instskip(NEXT) | instid1(VALU_DEP_2)
	v_sub_co_u32 v6, vcc_lo, v4, v6
	v_add3_u32 v7, v7, v15, v14
	s_delay_alu instid0(VALU_DEP_1) | instskip(NEXT) | instid1(VALU_DEP_1)
	v_sub_nc_u32_e32 v14, v5, v7
	v_subrev_co_ci_u32_e64 v14, s2, s7, v14, vcc_lo
	v_add_co_u32 v15, s2, v10, 2
	s_delay_alu instid0(VALU_DEP_1) | instskip(SKIP_3) | instid1(VALU_DEP_3)
	v_add_co_ci_u32_e64 v16, s2, 0, v11, s2
	v_sub_co_u32 v17, s2, v6, s6
	v_sub_co_ci_u32_e32 v7, vcc_lo, v5, v7, vcc_lo
	v_subrev_co_ci_u32_e64 v14, s2, 0, v14, s2
	v_cmp_le_u32_e32 vcc_lo, s6, v17
	s_delay_alu instid0(VALU_DEP_3) | instskip(SKIP_1) | instid1(VALU_DEP_4)
	v_cmp_eq_u32_e64 s2, s7, v7
	v_cndmask_b32_e64 v17, 0, -1, vcc_lo
	v_cmp_le_u32_e32 vcc_lo, s7, v14
	v_cndmask_b32_e64 v18, 0, -1, vcc_lo
	v_cmp_le_u32_e32 vcc_lo, s6, v6
	v_cndmask_b32_e64 v6, 0, -1, vcc_lo
	v_cmp_le_u32_e32 vcc_lo, s7, v7
	v_cndmask_b32_e64 v19, 0, -1, vcc_lo
	v_cmp_eq_u32_e32 vcc_lo, s7, v14
	s_delay_alu instid0(VALU_DEP_2) | instskip(SKIP_3) | instid1(VALU_DEP_3)
	v_cndmask_b32_e64 v6, v19, v6, s2
	v_cndmask_b32_e32 v14, v18, v17, vcc_lo
	v_add_co_u32 v17, vcc_lo, v10, 1
	v_add_co_ci_u32_e32 v18, vcc_lo, 0, v11, vcc_lo
	v_cmp_ne_u32_e32 vcc_lo, 0, v14
	s_delay_alu instid0(VALU_DEP_2) | instskip(SKIP_1) | instid1(VALU_DEP_2)
	v_dual_cndmask_b32 v7, v18, v16 :: v_dual_cndmask_b32 v14, v17, v15
	v_cmp_ne_u32_e32 vcc_lo, 0, v6
	v_dual_cndmask_b32 v6, v11, v7 :: v_dual_cndmask_b32 v7, v10, v14
	s_delay_alu instid0(VALU_DEP_1) | instskip(NEXT) | instid1(VALU_DEP_2)
	v_xor_b32_e32 v10, s4, v6
	v_xor_b32_e32 v7, s4, v7
	s_delay_alu instid0(VALU_DEP_1) | instskip(NEXT) | instid1(VALU_DEP_3)
	v_sub_co_u32 v6, vcc_lo, v7, s4
	v_subrev_co_ci_u32_e32 v7, vcc_lo, s4, v10, vcc_lo
.LBB10_15:
	s_and_not1_saveexec_b32 s2, s11
	s_cbranch_execz .LBB10_17
; %bb.16:
	v_cvt_f32_u32_e32 v6, s10
	s_sub_i32 s4, 0, s10
	s_delay_alu instid0(VALU_DEP_1) | instskip(SKIP_2) | instid1(VALU_DEP_1)
	v_rcp_iflag_f32_e32 v6, v6
	s_waitcnt_depctr 0xfff
	v_mul_f32_e32 v6, 0x4f7ffffe, v6
	v_cvt_u32_f32_e32 v6, v6
	s_delay_alu instid0(VALU_DEP_1) | instskip(NEXT) | instid1(VALU_DEP_1)
	v_mul_lo_u32 v7, s4, v6
	v_mul_hi_u32 v7, v6, v7
	s_delay_alu instid0(VALU_DEP_1) | instskip(NEXT) | instid1(VALU_DEP_1)
	v_add_nc_u32_e32 v6, v6, v7
	v_mul_hi_u32 v6, v4, v6
	s_delay_alu instid0(VALU_DEP_1) | instskip(SKIP_1) | instid1(VALU_DEP_2)
	v_mul_lo_u32 v7, v6, s10
	v_add_nc_u32_e32 v10, 1, v6
	v_sub_nc_u32_e32 v7, v4, v7
	s_delay_alu instid0(VALU_DEP_1) | instskip(SKIP_1) | instid1(VALU_DEP_2)
	v_subrev_nc_u32_e32 v11, s10, v7
	v_cmp_le_u32_e32 vcc_lo, s10, v7
	v_dual_cndmask_b32 v7, v7, v11 :: v_dual_cndmask_b32 v6, v6, v10
	s_delay_alu instid0(VALU_DEP_1) | instskip(NEXT) | instid1(VALU_DEP_2)
	v_cmp_le_u32_e32 vcc_lo, s10, v7
	v_dual_mov_b32 v7, 0 :: v_dual_add_nc_u32 v10, 1, v6
	s_delay_alu instid0(VALU_DEP_1)
	v_cndmask_b32_e32 v6, v6, v10, vcc_lo
.LBB10_17:
	s_or_b32 exec_lo, exec_lo, s2
	s_delay_alu instid0(VALU_DEP_1) | instskip(NEXT) | instid1(VALU_DEP_2)
	v_mul_lo_u32 v14, s9, v6
	v_mul_lo_u32 v15, s10, v7
	v_mad_u64_u32 v[10:11], null, s10, v6, 0
	s_delay_alu instid0(VALU_DEP_1) | instskip(NEXT) | instid1(VALU_DEP_2)
	v_add3_u32 v11, v11, v15, v14
	v_sub_co_u32 v10, vcc_lo, v4, v10
	v_mov_b32_e32 v4, 0
	s_delay_alu instid0(VALU_DEP_3) | instskip(NEXT) | instid1(VALU_DEP_1)
	v_sub_co_ci_u32_e32 v11, vcc_lo, v5, v11, vcc_lo
	v_or_b32_e32 v5, s8, v11
	s_delay_alu instid0(VALU_DEP_1) | instskip(SKIP_1) | instid1(SALU_CYCLE_1)
	v_cmp_ne_u64_e32 vcc_lo, 0, v[4:5]
                                        ; implicit-def: $vgpr4_vgpr5
	s_and_saveexec_b32 s2, vcc_lo
	s_xor_b32 s9, exec_lo, s2
	s_cbranch_execz .LBB10_19
; %bb.18:
	s_ashr_i32 s4, s8, 31
	s_delay_alu instid0(SALU_CYCLE_1) | instskip(SKIP_2) | instid1(SALU_CYCLE_1)
	s_add_u32 s6, s3, s4
	s_mov_b32 s5, s4
	s_addc_u32 s7, s8, s4
	s_xor_b64 s[6:7], s[6:7], s[4:5]
	s_delay_alu instid0(SALU_CYCLE_1) | instskip(SKIP_3) | instid1(VALU_DEP_1)
	v_cvt_f32_u32_e32 v4, s6
	v_cvt_f32_u32_e32 v5, s7
	s_sub_u32 s2, 0, s6
	s_subb_u32 s5, 0, s7
	v_fmamk_f32 v4, v5, 0x4f800000, v4
	s_delay_alu instid0(VALU_DEP_1) | instskip(SKIP_2) | instid1(VALU_DEP_1)
	v_rcp_f32_e32 v4, v4
	s_waitcnt_depctr 0xfff
	v_mul_f32_e32 v4, 0x5f7ffffc, v4
	v_mul_f32_e32 v5, 0x2f800000, v4
	s_delay_alu instid0(VALU_DEP_1) | instskip(NEXT) | instid1(VALU_DEP_1)
	v_trunc_f32_e32 v5, v5
	v_fmamk_f32 v4, v5, 0xcf800000, v4
	v_cvt_u32_f32_e32 v5, v5
	s_delay_alu instid0(VALU_DEP_2) | instskip(NEXT) | instid1(VALU_DEP_2)
	v_cvt_u32_f32_e32 v4, v4
	v_mul_lo_u32 v14, s2, v5
	s_delay_alu instid0(VALU_DEP_2) | instskip(SKIP_1) | instid1(VALU_DEP_2)
	v_mul_hi_u32 v15, s2, v4
	v_mul_lo_u32 v16, s5, v4
	v_add_nc_u32_e32 v14, v15, v14
	v_mul_lo_u32 v15, s2, v4
	s_delay_alu instid0(VALU_DEP_2) | instskip(NEXT) | instid1(VALU_DEP_2)
	v_add_nc_u32_e32 v14, v14, v16
	v_mul_hi_u32 v16, v4, v15
	s_delay_alu instid0(VALU_DEP_2)
	v_mul_lo_u32 v17, v4, v14
	v_mul_hi_u32 v18, v4, v14
	v_mul_hi_u32 v19, v5, v15
	v_mul_lo_u32 v15, v5, v15
	v_mul_hi_u32 v20, v5, v14
	v_mul_lo_u32 v14, v5, v14
	v_add_co_u32 v16, vcc_lo, v16, v17
	v_add_co_ci_u32_e32 v17, vcc_lo, 0, v18, vcc_lo
	s_delay_alu instid0(VALU_DEP_2) | instskip(NEXT) | instid1(VALU_DEP_2)
	v_add_co_u32 v15, vcc_lo, v16, v15
	v_add_co_ci_u32_e32 v15, vcc_lo, v17, v19, vcc_lo
	v_add_co_ci_u32_e32 v16, vcc_lo, 0, v20, vcc_lo
	v_ashrrev_i32_e32 v19, 31, v11
	s_delay_alu instid0(VALU_DEP_3) | instskip(NEXT) | instid1(VALU_DEP_3)
	v_add_co_u32 v14, vcc_lo, v15, v14
	v_add_co_ci_u32_e32 v15, vcc_lo, 0, v16, vcc_lo
	s_delay_alu instid0(VALU_DEP_2) | instskip(NEXT) | instid1(VALU_DEP_2)
	v_add_co_u32 v4, vcc_lo, v4, v14
	v_add_co_ci_u32_e32 v5, vcc_lo, v5, v15, vcc_lo
	s_delay_alu instid0(VALU_DEP_2) | instskip(SKIP_1) | instid1(VALU_DEP_3)
	v_mul_hi_u32 v14, s2, v4
	v_mul_lo_u32 v16, s5, v4
	v_mul_lo_u32 v15, s2, v5
	s_delay_alu instid0(VALU_DEP_1) | instskip(SKIP_1) | instid1(VALU_DEP_2)
	v_add_nc_u32_e32 v14, v14, v15
	v_mul_lo_u32 v15, s2, v4
	v_add_nc_u32_e32 v14, v14, v16
	s_delay_alu instid0(VALU_DEP_2) | instskip(NEXT) | instid1(VALU_DEP_2)
	v_mul_hi_u32 v16, v4, v15
	v_mul_lo_u32 v17, v4, v14
	v_mul_hi_u32 v18, v4, v14
	v_mul_hi_u32 v20, v5, v15
	v_mul_lo_u32 v15, v5, v15
	v_mul_hi_u32 v21, v5, v14
	v_mul_lo_u32 v14, v5, v14
	v_add_co_u32 v16, vcc_lo, v16, v17
	v_add_co_ci_u32_e32 v17, vcc_lo, 0, v18, vcc_lo
	s_delay_alu instid0(VALU_DEP_2) | instskip(NEXT) | instid1(VALU_DEP_2)
	v_add_co_u32 v15, vcc_lo, v16, v15
	v_add_co_ci_u32_e32 v15, vcc_lo, v17, v20, vcc_lo
	v_add_co_ci_u32_e32 v16, vcc_lo, 0, v21, vcc_lo
	v_add_co_u32 v17, vcc_lo, v10, v19
	v_add_co_ci_u32_e32 v18, vcc_lo, v11, v19, vcc_lo
	s_delay_alu instid0(VALU_DEP_4) | instskip(NEXT) | instid1(VALU_DEP_4)
	v_add_co_u32 v14, vcc_lo, v15, v14
	v_add_co_ci_u32_e32 v15, vcc_lo, 0, v16, vcc_lo
	s_delay_alu instid0(VALU_DEP_4) | instskip(NEXT) | instid1(VALU_DEP_3)
	v_xor_b32_e32 v20, v17, v19
	v_add_co_u32 v16, vcc_lo, v4, v14
	s_delay_alu instid0(VALU_DEP_3) | instskip(SKIP_1) | instid1(VALU_DEP_3)
	v_add_co_ci_u32_e32 v21, vcc_lo, v5, v15, vcc_lo
	v_xor_b32_e32 v18, v18, v19
	v_mul_hi_u32 v22, v20, v16
	s_delay_alu instid0(VALU_DEP_3) | instskip(NEXT) | instid1(VALU_DEP_3)
	v_mad_u64_u32 v[4:5], null, v20, v21, 0
	v_mad_u64_u32 v[14:15], null, v18, v16, 0
	;; [unrolled: 1-line block ×3, first 2 shown]
	s_delay_alu instid0(VALU_DEP_3) | instskip(NEXT) | instid1(VALU_DEP_4)
	v_add_co_u32 v4, vcc_lo, v22, v4
	v_add_co_ci_u32_e32 v5, vcc_lo, 0, v5, vcc_lo
	s_delay_alu instid0(VALU_DEP_2) | instskip(NEXT) | instid1(VALU_DEP_2)
	v_add_co_u32 v4, vcc_lo, v4, v14
	v_add_co_ci_u32_e32 v4, vcc_lo, v5, v15, vcc_lo
	v_add_co_ci_u32_e32 v5, vcc_lo, 0, v17, vcc_lo
	s_delay_alu instid0(VALU_DEP_2) | instskip(NEXT) | instid1(VALU_DEP_2)
	v_add_co_u32 v14, vcc_lo, v4, v16
	v_add_co_ci_u32_e32 v15, vcc_lo, 0, v5, vcc_lo
	s_delay_alu instid0(VALU_DEP_2) | instskip(SKIP_1) | instid1(VALU_DEP_3)
	v_mul_lo_u32 v16, s7, v14
	v_mad_u64_u32 v[4:5], null, s6, v14, 0
	v_mul_lo_u32 v17, s6, v15
	s_delay_alu instid0(VALU_DEP_2) | instskip(NEXT) | instid1(VALU_DEP_2)
	v_sub_co_u32 v4, vcc_lo, v20, v4
	v_add3_u32 v5, v5, v17, v16
	s_delay_alu instid0(VALU_DEP_1) | instskip(NEXT) | instid1(VALU_DEP_1)
	v_sub_nc_u32_e32 v16, v18, v5
	v_subrev_co_ci_u32_e64 v16, s2, s7, v16, vcc_lo
	v_add_co_u32 v17, s2, v14, 2
	s_delay_alu instid0(VALU_DEP_1) | instskip(SKIP_3) | instid1(VALU_DEP_3)
	v_add_co_ci_u32_e64 v20, s2, 0, v15, s2
	v_sub_co_u32 v21, s2, v4, s6
	v_sub_co_ci_u32_e32 v5, vcc_lo, v18, v5, vcc_lo
	v_subrev_co_ci_u32_e64 v16, s2, 0, v16, s2
	v_cmp_le_u32_e32 vcc_lo, s6, v21
	s_delay_alu instid0(VALU_DEP_3) | instskip(SKIP_1) | instid1(VALU_DEP_4)
	v_cmp_eq_u32_e64 s2, s7, v5
	v_cndmask_b32_e64 v18, 0, -1, vcc_lo
	v_cmp_le_u32_e32 vcc_lo, s7, v16
	v_cndmask_b32_e64 v21, 0, -1, vcc_lo
	v_cmp_le_u32_e32 vcc_lo, s6, v4
	;; [unrolled: 2-line block ×3, first 2 shown]
	v_cndmask_b32_e64 v22, 0, -1, vcc_lo
	v_cmp_eq_u32_e32 vcc_lo, s7, v16
	s_delay_alu instid0(VALU_DEP_2) | instskip(SKIP_3) | instid1(VALU_DEP_3)
	v_cndmask_b32_e64 v4, v22, v4, s2
	v_cndmask_b32_e32 v16, v21, v18, vcc_lo
	v_add_co_u32 v18, vcc_lo, v14, 1
	v_add_co_ci_u32_e32 v21, vcc_lo, 0, v15, vcc_lo
	v_cmp_ne_u32_e32 vcc_lo, 0, v16
	s_delay_alu instid0(VALU_DEP_2) | instskip(SKIP_2) | instid1(VALU_DEP_3)
	v_dual_cndmask_b32 v5, v21, v20 :: v_dual_cndmask_b32 v16, v18, v17
	v_cmp_ne_u32_e32 vcc_lo, 0, v4
	v_xor_b32_e32 v17, s4, v19
	v_dual_cndmask_b32 v4, v15, v5 :: v_dual_cndmask_b32 v5, v14, v16
	s_delay_alu instid0(VALU_DEP_1) | instskip(NEXT) | instid1(VALU_DEP_2)
	v_xor_b32_e32 v14, v4, v17
	v_xor_b32_e32 v5, v5, v17
	s_delay_alu instid0(VALU_DEP_1) | instskip(NEXT) | instid1(VALU_DEP_3)
	v_sub_co_u32 v4, vcc_lo, v5, v17
	v_sub_co_ci_u32_e32 v5, vcc_lo, v14, v17, vcc_lo
.LBB10_19:
	s_and_not1_saveexec_b32 s2, s9
	s_cbranch_execz .LBB10_21
; %bb.20:
	v_cvt_f32_u32_e32 v4, s3
	s_sub_i32 s4, 0, s3
	s_delay_alu instid0(VALU_DEP_1) | instskip(SKIP_2) | instid1(VALU_DEP_1)
	v_rcp_iflag_f32_e32 v4, v4
	s_waitcnt_depctr 0xfff
	v_mul_f32_e32 v4, 0x4f7ffffe, v4
	v_cvt_u32_f32_e32 v4, v4
	s_delay_alu instid0(VALU_DEP_1) | instskip(NEXT) | instid1(VALU_DEP_1)
	v_mul_lo_u32 v5, s4, v4
	v_mul_hi_u32 v5, v4, v5
	s_delay_alu instid0(VALU_DEP_1) | instskip(NEXT) | instid1(VALU_DEP_1)
	v_add_nc_u32_e32 v4, v4, v5
	v_mul_hi_u32 v4, v10, v4
	s_delay_alu instid0(VALU_DEP_1) | instskip(SKIP_1) | instid1(VALU_DEP_2)
	v_mul_lo_u32 v5, v4, s3
	v_add_nc_u32_e32 v14, 1, v4
	v_sub_nc_u32_e32 v5, v10, v5
	s_delay_alu instid0(VALU_DEP_1) | instskip(SKIP_1) | instid1(VALU_DEP_2)
	v_subrev_nc_u32_e32 v15, s3, v5
	v_cmp_le_u32_e32 vcc_lo, s3, v5
	v_dual_cndmask_b32 v5, v5, v15 :: v_dual_cndmask_b32 v4, v4, v14
	s_delay_alu instid0(VALU_DEP_1) | instskip(NEXT) | instid1(VALU_DEP_2)
	v_cmp_le_u32_e32 vcc_lo, s3, v5
	v_dual_mov_b32 v5, 0 :: v_dual_add_nc_u32 v14, 1, v4
	s_delay_alu instid0(VALU_DEP_1)
	v_cndmask_b32_e32 v4, v4, v14, vcc_lo
.LBB10_21:
	s_or_b32 exec_lo, exec_lo, s2
	s_delay_alu instid0(VALU_DEP_1) | instskip(NEXT) | instid1(VALU_DEP_2)
	v_mul_lo_u32 v16, s8, v4
	v_mul_lo_u32 v17, s3, v5
	v_mad_u64_u32 v[14:15], null, s3, v4, 0
	s_delay_alu instid0(VALU_DEP_1) | instskip(NEXT) | instid1(VALU_DEP_2)
	v_add3_u32 v15, v15, v17, v16
	v_sub_co_u32 v14, vcc_lo, v10, v14
	v_mov_b32_e32 v10, 0
	s_delay_alu instid0(VALU_DEP_3) | instskip(NEXT) | instid1(VALU_DEP_1)
	v_sub_co_ci_u32_e32 v15, vcc_lo, v11, v15, vcc_lo
	v_or_b32_e32 v11, s41, v15
	s_delay_alu instid0(VALU_DEP_1) | instskip(SKIP_1) | instid1(SALU_CYCLE_1)
	v_cmp_ne_u64_e32 vcc_lo, 0, v[10:11]
                                        ; implicit-def: $vgpr10_vgpr11
	s_and_saveexec_b32 s2, vcc_lo
	s_xor_b32 s3, exec_lo, s2
	s_cbranch_execz .LBB10_23
; %bb.22:
	s_ashr_i32 s4, s41, 31
	s_delay_alu instid0(SALU_CYCLE_1) | instskip(SKIP_2) | instid1(SALU_CYCLE_1)
	s_add_u32 s6, s40, s4
	s_mov_b32 s5, s4
	s_addc_u32 s7, s41, s4
	s_xor_b64 s[6:7], s[6:7], s[4:5]
	s_delay_alu instid0(SALU_CYCLE_1) | instskip(SKIP_3) | instid1(VALU_DEP_1)
	v_cvt_f32_u32_e32 v10, s6
	v_cvt_f32_u32_e32 v11, s7
	s_sub_u32 s2, 0, s6
	s_subb_u32 s5, 0, s7
	v_fmamk_f32 v10, v11, 0x4f800000, v10
	s_delay_alu instid0(VALU_DEP_1) | instskip(SKIP_2) | instid1(VALU_DEP_1)
	v_rcp_f32_e32 v10, v10
	s_waitcnt_depctr 0xfff
	v_mul_f32_e32 v10, 0x5f7ffffc, v10
	v_mul_f32_e32 v11, 0x2f800000, v10
	s_delay_alu instid0(VALU_DEP_1) | instskip(NEXT) | instid1(VALU_DEP_1)
	v_trunc_f32_e32 v11, v11
	v_fmamk_f32 v10, v11, 0xcf800000, v10
	v_cvt_u32_f32_e32 v11, v11
	s_delay_alu instid0(VALU_DEP_2) | instskip(NEXT) | instid1(VALU_DEP_2)
	v_cvt_u32_f32_e32 v10, v10
	v_mul_lo_u32 v16, s2, v11
	s_delay_alu instid0(VALU_DEP_2) | instskip(SKIP_1) | instid1(VALU_DEP_2)
	v_mul_hi_u32 v17, s2, v10
	v_mul_lo_u32 v18, s5, v10
	v_add_nc_u32_e32 v16, v17, v16
	v_mul_lo_u32 v17, s2, v10
	s_delay_alu instid0(VALU_DEP_2) | instskip(NEXT) | instid1(VALU_DEP_2)
	v_add_nc_u32_e32 v16, v16, v18
	v_mul_hi_u32 v18, v10, v17
	s_delay_alu instid0(VALU_DEP_2)
	v_mul_lo_u32 v19, v10, v16
	v_mul_hi_u32 v20, v10, v16
	v_mul_hi_u32 v21, v11, v17
	v_mul_lo_u32 v17, v11, v17
	v_mul_hi_u32 v22, v11, v16
	v_mul_lo_u32 v16, v11, v16
	v_add_co_u32 v18, vcc_lo, v18, v19
	v_add_co_ci_u32_e32 v19, vcc_lo, 0, v20, vcc_lo
	s_delay_alu instid0(VALU_DEP_2) | instskip(NEXT) | instid1(VALU_DEP_2)
	v_add_co_u32 v17, vcc_lo, v18, v17
	v_add_co_ci_u32_e32 v17, vcc_lo, v19, v21, vcc_lo
	v_add_co_ci_u32_e32 v18, vcc_lo, 0, v22, vcc_lo
	v_ashrrev_i32_e32 v21, 31, v15
	s_delay_alu instid0(VALU_DEP_3) | instskip(NEXT) | instid1(VALU_DEP_3)
	v_add_co_u32 v16, vcc_lo, v17, v16
	v_add_co_ci_u32_e32 v17, vcc_lo, 0, v18, vcc_lo
	s_delay_alu instid0(VALU_DEP_2) | instskip(NEXT) | instid1(VALU_DEP_2)
	v_add_co_u32 v10, vcc_lo, v10, v16
	v_add_co_ci_u32_e32 v11, vcc_lo, v11, v17, vcc_lo
	s_delay_alu instid0(VALU_DEP_2) | instskip(SKIP_1) | instid1(VALU_DEP_3)
	v_mul_hi_u32 v16, s2, v10
	v_mul_lo_u32 v18, s5, v10
	v_mul_lo_u32 v17, s2, v11
	s_delay_alu instid0(VALU_DEP_1) | instskip(SKIP_1) | instid1(VALU_DEP_2)
	v_add_nc_u32_e32 v16, v16, v17
	v_mul_lo_u32 v17, s2, v10
	v_add_nc_u32_e32 v16, v16, v18
	s_delay_alu instid0(VALU_DEP_2) | instskip(NEXT) | instid1(VALU_DEP_2)
	v_mul_hi_u32 v18, v10, v17
	v_mul_lo_u32 v19, v10, v16
	v_mul_hi_u32 v20, v10, v16
	v_mul_hi_u32 v22, v11, v17
	v_mul_lo_u32 v17, v11, v17
	v_mul_hi_u32 v23, v11, v16
	v_mul_lo_u32 v16, v11, v16
	v_add_co_u32 v18, vcc_lo, v18, v19
	v_add_co_ci_u32_e32 v19, vcc_lo, 0, v20, vcc_lo
	s_delay_alu instid0(VALU_DEP_2) | instskip(NEXT) | instid1(VALU_DEP_2)
	v_add_co_u32 v17, vcc_lo, v18, v17
	v_add_co_ci_u32_e32 v17, vcc_lo, v19, v22, vcc_lo
	v_add_co_ci_u32_e32 v18, vcc_lo, 0, v23, vcc_lo
	v_add_co_u32 v19, vcc_lo, v14, v21
	v_add_co_ci_u32_e32 v20, vcc_lo, v15, v21, vcc_lo
	s_delay_alu instid0(VALU_DEP_4) | instskip(NEXT) | instid1(VALU_DEP_4)
	v_add_co_u32 v16, vcc_lo, v17, v16
	v_add_co_ci_u32_e32 v17, vcc_lo, 0, v18, vcc_lo
	s_delay_alu instid0(VALU_DEP_4) | instskip(NEXT) | instid1(VALU_DEP_3)
	v_xor_b32_e32 v22, v19, v21
	v_add_co_u32 v18, vcc_lo, v10, v16
	s_delay_alu instid0(VALU_DEP_3) | instskip(SKIP_1) | instid1(VALU_DEP_3)
	v_add_co_ci_u32_e32 v23, vcc_lo, v11, v17, vcc_lo
	v_xor_b32_e32 v20, v20, v21
	v_mul_hi_u32 v24, v22, v18
	s_delay_alu instid0(VALU_DEP_3) | instskip(NEXT) | instid1(VALU_DEP_3)
	v_mad_u64_u32 v[10:11], null, v22, v23, 0
	v_mad_u64_u32 v[16:17], null, v20, v18, 0
	;; [unrolled: 1-line block ×3, first 2 shown]
	s_delay_alu instid0(VALU_DEP_3) | instskip(NEXT) | instid1(VALU_DEP_4)
	v_add_co_u32 v10, vcc_lo, v24, v10
	v_add_co_ci_u32_e32 v11, vcc_lo, 0, v11, vcc_lo
	s_delay_alu instid0(VALU_DEP_2) | instskip(NEXT) | instid1(VALU_DEP_2)
	v_add_co_u32 v10, vcc_lo, v10, v16
	v_add_co_ci_u32_e32 v10, vcc_lo, v11, v17, vcc_lo
	v_add_co_ci_u32_e32 v11, vcc_lo, 0, v19, vcc_lo
	s_delay_alu instid0(VALU_DEP_2) | instskip(NEXT) | instid1(VALU_DEP_2)
	v_add_co_u32 v16, vcc_lo, v10, v18
	v_add_co_ci_u32_e32 v17, vcc_lo, 0, v11, vcc_lo
	s_delay_alu instid0(VALU_DEP_2) | instskip(SKIP_1) | instid1(VALU_DEP_3)
	v_mul_lo_u32 v18, s7, v16
	v_mad_u64_u32 v[10:11], null, s6, v16, 0
	v_mul_lo_u32 v19, s6, v17
	s_delay_alu instid0(VALU_DEP_2) | instskip(NEXT) | instid1(VALU_DEP_2)
	v_sub_co_u32 v10, vcc_lo, v22, v10
	v_add3_u32 v11, v11, v19, v18
	s_delay_alu instid0(VALU_DEP_1) | instskip(NEXT) | instid1(VALU_DEP_1)
	v_sub_nc_u32_e32 v18, v20, v11
	v_subrev_co_ci_u32_e64 v18, s2, s7, v18, vcc_lo
	v_add_co_u32 v19, s2, v16, 2
	s_delay_alu instid0(VALU_DEP_1) | instskip(SKIP_3) | instid1(VALU_DEP_3)
	v_add_co_ci_u32_e64 v22, s2, 0, v17, s2
	v_sub_co_u32 v23, s2, v10, s6
	v_sub_co_ci_u32_e32 v11, vcc_lo, v20, v11, vcc_lo
	v_subrev_co_ci_u32_e64 v18, s2, 0, v18, s2
	v_cmp_le_u32_e32 vcc_lo, s6, v23
	s_delay_alu instid0(VALU_DEP_3) | instskip(SKIP_1) | instid1(VALU_DEP_4)
	v_cmp_eq_u32_e64 s2, s7, v11
	v_cndmask_b32_e64 v20, 0, -1, vcc_lo
	v_cmp_le_u32_e32 vcc_lo, s7, v18
	v_cndmask_b32_e64 v23, 0, -1, vcc_lo
	v_cmp_le_u32_e32 vcc_lo, s6, v10
	;; [unrolled: 2-line block ×3, first 2 shown]
	v_cndmask_b32_e64 v24, 0, -1, vcc_lo
	v_cmp_eq_u32_e32 vcc_lo, s7, v18
	s_delay_alu instid0(VALU_DEP_2) | instskip(SKIP_3) | instid1(VALU_DEP_3)
	v_cndmask_b32_e64 v10, v24, v10, s2
	v_cndmask_b32_e32 v18, v23, v20, vcc_lo
	v_add_co_u32 v20, vcc_lo, v16, 1
	v_add_co_ci_u32_e32 v23, vcc_lo, 0, v17, vcc_lo
	v_cmp_ne_u32_e32 vcc_lo, 0, v18
	s_delay_alu instid0(VALU_DEP_2) | instskip(SKIP_2) | instid1(VALU_DEP_3)
	v_dual_cndmask_b32 v11, v23, v22 :: v_dual_cndmask_b32 v18, v20, v19
	v_cmp_ne_u32_e32 vcc_lo, 0, v10
	v_xor_b32_e32 v19, s4, v21
	v_dual_cndmask_b32 v10, v17, v11 :: v_dual_cndmask_b32 v11, v16, v18
	s_delay_alu instid0(VALU_DEP_1) | instskip(NEXT) | instid1(VALU_DEP_2)
	v_xor_b32_e32 v16, v10, v19
	v_xor_b32_e32 v11, v11, v19
	s_delay_alu instid0(VALU_DEP_1) | instskip(NEXT) | instid1(VALU_DEP_3)
	v_sub_co_u32 v10, vcc_lo, v11, v19
	v_sub_co_ci_u32_e32 v11, vcc_lo, v16, v19, vcc_lo
.LBB10_23:
	s_and_not1_saveexec_b32 s2, s3
	s_cbranch_execz .LBB10_25
; %bb.24:
	v_cvt_f32_u32_e32 v10, s40
	s_sub_i32 s3, 0, s40
	s_delay_alu instid0(VALU_DEP_1) | instskip(SKIP_2) | instid1(VALU_DEP_1)
	v_rcp_iflag_f32_e32 v10, v10
	s_waitcnt_depctr 0xfff
	v_mul_f32_e32 v10, 0x4f7ffffe, v10
	v_cvt_u32_f32_e32 v10, v10
	s_delay_alu instid0(VALU_DEP_1) | instskip(NEXT) | instid1(VALU_DEP_1)
	v_mul_lo_u32 v11, s3, v10
	v_mul_hi_u32 v11, v10, v11
	s_delay_alu instid0(VALU_DEP_1) | instskip(NEXT) | instid1(VALU_DEP_1)
	v_add_nc_u32_e32 v10, v10, v11
	v_mul_hi_u32 v10, v14, v10
	s_delay_alu instid0(VALU_DEP_1) | instskip(SKIP_1) | instid1(VALU_DEP_2)
	v_mul_lo_u32 v11, v10, s40
	v_add_nc_u32_e32 v16, 1, v10
	v_sub_nc_u32_e32 v11, v14, v11
	s_delay_alu instid0(VALU_DEP_1) | instskip(SKIP_1) | instid1(VALU_DEP_2)
	v_subrev_nc_u32_e32 v17, s40, v11
	v_cmp_le_u32_e32 vcc_lo, s40, v11
	v_dual_cndmask_b32 v11, v11, v17 :: v_dual_cndmask_b32 v10, v10, v16
	s_delay_alu instid0(VALU_DEP_1) | instskip(NEXT) | instid1(VALU_DEP_2)
	v_cmp_le_u32_e32 vcc_lo, s40, v11
	v_dual_mov_b32 v11, 0 :: v_dual_add_nc_u32 v16, 1, v10
	s_delay_alu instid0(VALU_DEP_1)
	v_cndmask_b32_e32 v10, v10, v16, vcc_lo
.LBB10_25:
	s_or_b32 exec_lo, exec_lo, s2
	v_mul_lo_u32 v18, v9, s22
	v_mul_lo_u32 v19, v8, s23
	v_mad_u64_u32 v[16:17], null, v8, s22, 0
	v_mul_lo_u32 v9, v9, s30
	v_mul_lo_u32 v3, v3, s36
	s_load_b64 s[0:1], s[0:1], 0x80
	v_mul_lo_u32 v5, v5, s50
	s_delay_alu instid0(VALU_DEP_4) | instskip(SKIP_1) | instid1(VALU_DEP_2)
	v_add3_u32 v17, v17, v19, v18
	v_sub_co_u32 v16, vcc_lo, v12, v16
	v_sub_co_ci_u32_e32 v17, vcc_lo, v13, v17, vcc_lo
	s_delay_alu instid0(VALU_DEP_2) | instskip(SKIP_1) | instid1(VALU_DEP_3)
	v_mul_lo_u32 v18, v16, s29
	v_mad_u64_u32 v[12:13], null, v16, s28, s[16:17]
	v_mul_lo_u32 v16, v17, s28
	s_waitcnt lgkmcnt(0)
	v_mul_lo_u32 v7, v7, s0
	s_delay_alu instid0(VALU_DEP_2) | instskip(SKIP_1) | instid1(VALU_DEP_2)
	v_add3_u32 v13, v16, v13, v18
	v_mul_lo_u32 v18, v8, s31
	v_mad_u64_u32 v[16:17], null, v8, s30, v[12:13]
	v_mul_lo_u32 v12, v2, s37
	v_mul_lo_u32 v13, v11, s40
	;; [unrolled: 1-line block ×3, first 2 shown]
	s_delay_alu instid0(VALU_DEP_4) | instskip(NEXT) | instid1(VALU_DEP_1)
	v_add3_u32 v17, v9, v17, v18
	v_mad_u64_u32 v[8:9], null, v2, s36, v[16:17]
	s_delay_alu instid0(VALU_DEP_1) | instskip(SKIP_2) | instid1(VALU_DEP_3)
	v_add3_u32 v9, v3, v9, v12
	v_mul_lo_u32 v3, v0, s39
	v_mul_lo_u32 v12, v1, s38
	v_mad_u64_u32 v[1:2], null, v0, s38, v[8:9]
	v_mad_u64_u32 v[8:9], null, v10, s40, 0
	s_delay_alu instid0(VALU_DEP_2)
	v_add3_u32 v2, v12, v2, v3
	s_clause 0x7
	global_load_b128 v[16:19], v[1:2], off
	global_load_b128 v[20:23], v[1:2], off offset:16
	global_load_b128 v[24:27], v[1:2], off offset:32
	;; [unrolled: 1-line block ×7, first 2 shown]
	v_sub_co_u32 v8, s2, v14, v8
	s_waitcnt vmcnt(7)
	v_cmp_lg_f32_e32 vcc_lo, 0, v16
	v_cndmask_b32_e64 v3, 0, |v16|, vcc_lo
	v_cndmask_b32_e32 v0, 0, v16, vcc_lo
	v_mul_lo_u32 v16, v10, s41
	s_delay_alu instid0(VALU_DEP_3) | instskip(NEXT) | instid1(VALU_DEP_2)
	v_cmp_lt_f32_e64 vcc_lo, v3, |v17|
	v_add3_u32 v9, v9, v16, v13
	s_delay_alu instid0(VALU_DEP_2) | instskip(SKIP_1) | instid1(VALU_DEP_3)
	v_cndmask_b32_e64 v3, v3, |v17|, vcc_lo
	v_cndmask_b32_e32 v0, v0, v17, vcc_lo
	v_sub_co_ci_u32_e64 v9, s2, v15, v9, s2
	s_delay_alu instid0(VALU_DEP_3) | instskip(NEXT) | instid1(VALU_DEP_2)
	v_cmp_lt_f32_e64 vcc_lo, v3, |v18|
	v_ashrrev_i32_e32 v15, 31, v9
	s_delay_alu instid0(VALU_DEP_2) | instskip(SKIP_1) | instid1(VALU_DEP_2)
	v_cndmask_b32_e64 v3, v3, |v18|, vcc_lo
	v_cndmask_b32_e32 v0, v0, v18, vcc_lo
	v_cmp_lt_f32_e64 vcc_lo, v3, |v19|
	s_delay_alu instid0(VALU_DEP_1) | instskip(NEXT) | instid1(VALU_DEP_3)
	v_cndmask_b32_e64 v3, v3, |v19|, vcc_lo
	v_cndmask_b32_e32 v0, v0, v19, vcc_lo
	s_waitcnt vmcnt(6)
	s_delay_alu instid0(VALU_DEP_2) | instskip(NEXT) | instid1(VALU_DEP_1)
	v_cmp_lt_f32_e64 vcc_lo, v3, |v20|
	v_cndmask_b32_e64 v3, v3, |v20|, vcc_lo
	s_delay_alu instid0(VALU_DEP_3) | instskip(NEXT) | instid1(VALU_DEP_2)
	v_cndmask_b32_e32 v0, v0, v20, vcc_lo
	v_cmp_lt_f32_e64 vcc_lo, v3, |v21|
	s_delay_alu instid0(VALU_DEP_1) | instskip(NEXT) | instid1(VALU_DEP_3)
	v_cndmask_b32_e64 v3, v3, |v21|, vcc_lo
	v_cndmask_b32_e32 v0, v0, v21, vcc_lo
	s_delay_alu instid0(VALU_DEP_2) | instskip(NEXT) | instid1(VALU_DEP_1)
	v_cmp_lt_f32_e64 vcc_lo, v3, |v22|
	v_cndmask_b32_e64 v3, v3, |v22|, vcc_lo
	s_delay_alu instid0(VALU_DEP_3) | instskip(NEXT) | instid1(VALU_DEP_2)
	v_cndmask_b32_e32 v0, v0, v22, vcc_lo
	v_cmp_lt_f32_e64 vcc_lo, v3, |v23|
	s_delay_alu instid0(VALU_DEP_1) | instskip(NEXT) | instid1(VALU_DEP_3)
	v_cndmask_b32_e64 v3, v3, |v23|, vcc_lo
	v_cndmask_b32_e32 v0, v0, v23, vcc_lo
	s_waitcnt vmcnt(5)
	s_delay_alu instid0(VALU_DEP_2) | instskip(NEXT) | instid1(VALU_DEP_1)
	v_cmp_lt_f32_e64 vcc_lo, v3, |v24|
	v_cndmask_b32_e64 v3, v3, |v24|, vcc_lo
	s_delay_alu instid0(VALU_DEP_3) | instskip(NEXT) | instid1(VALU_DEP_2)
	v_cndmask_b32_e32 v0, v0, v24, vcc_lo
	v_cmp_lt_f32_e64 vcc_lo, v3, |v25|
	s_delay_alu instid0(VALU_DEP_1) | instskip(NEXT) | instid1(VALU_DEP_3)
	v_cndmask_b32_e64 v3, v3, |v25|, vcc_lo
	v_cndmask_b32_e32 v0, v0, v25, vcc_lo
	s_delay_alu instid0(VALU_DEP_2) | instskip(NEXT) | instid1(VALU_DEP_1)
	v_cmp_lt_f32_e64 vcc_lo, v3, |v26|
	v_cndmask_b32_e64 v3, v3, |v26|, vcc_lo
	s_delay_alu instid0(VALU_DEP_3) | instskip(NEXT) | instid1(VALU_DEP_2)
	v_cndmask_b32_e32 v0, v0, v26, vcc_lo
	v_cmp_lt_f32_e64 vcc_lo, v3, |v27|
	s_delay_alu instid0(VALU_DEP_1) | instskip(NEXT) | instid1(VALU_DEP_3)
	v_cndmask_b32_e64 v3, v3, |v27|, vcc_lo
	v_cndmask_b32_e32 v0, v0, v27, vcc_lo
	s_waitcnt vmcnt(4)
	s_delay_alu instid0(VALU_DEP_2) | instskip(NEXT) | instid1(VALU_DEP_1)
	v_cmp_lt_f32_e64 vcc_lo, v3, |v28|
	v_cndmask_b32_e64 v3, v3, |v28|, vcc_lo
	s_delay_alu instid0(VALU_DEP_3) | instskip(NEXT) | instid1(VALU_DEP_2)
	v_cndmask_b32_e32 v0, v0, v28, vcc_lo
	v_cmp_lt_f32_e64 vcc_lo, v3, |v29|
	s_delay_alu instid0(VALU_DEP_1) | instskip(NEXT) | instid1(VALU_DEP_3)
	v_cndmask_b32_e64 v3, v3, |v29|, vcc_lo
	v_cndmask_b32_e32 v0, v0, v29, vcc_lo
	s_delay_alu instid0(VALU_DEP_2) | instskip(NEXT) | instid1(VALU_DEP_1)
	v_cmp_lt_f32_e64 vcc_lo, v3, |v30|
	v_cndmask_b32_e64 v3, v3, |v30|, vcc_lo
	s_delay_alu instid0(VALU_DEP_3) | instskip(NEXT) | instid1(VALU_DEP_2)
	v_cndmask_b32_e32 v0, v0, v30, vcc_lo
	v_cmp_lt_f32_e64 vcc_lo, v3, |v31|
	s_delay_alu instid0(VALU_DEP_1) | instskip(NEXT) | instid1(VALU_DEP_3)
	v_cndmask_b32_e64 v3, v3, |v31|, vcc_lo
	v_cndmask_b32_e32 v0, v0, v31, vcc_lo
	s_waitcnt vmcnt(3)
	s_delay_alu instid0(VALU_DEP_2) | instskip(NEXT) | instid1(VALU_DEP_1)
	v_cmp_lt_f32_e64 vcc_lo, v3, |v32|
	v_cndmask_b32_e64 v3, v3, |v32|, vcc_lo
	s_delay_alu instid0(VALU_DEP_3) | instskip(NEXT) | instid1(VALU_DEP_2)
	v_cndmask_b32_e32 v0, v0, v32, vcc_lo
	v_cmp_lt_f32_e64 vcc_lo, v3, |v33|
	s_delay_alu instid0(VALU_DEP_1) | instskip(NEXT) | instid1(VALU_DEP_3)
	v_cndmask_b32_e64 v3, v3, |v33|, vcc_lo
	v_cndmask_b32_e32 v0, v0, v33, vcc_lo
	s_delay_alu instid0(VALU_DEP_2) | instskip(NEXT) | instid1(VALU_DEP_1)
	v_cmp_lt_f32_e64 vcc_lo, v3, |v34|
	v_cndmask_b32_e64 v3, v3, |v34|, vcc_lo
	s_delay_alu instid0(VALU_DEP_3) | instskip(NEXT) | instid1(VALU_DEP_2)
	v_cndmask_b32_e32 v0, v0, v34, vcc_lo
	v_cmp_lt_f32_e64 vcc_lo, v3, |v35|
	s_delay_alu instid0(VALU_DEP_1) | instskip(NEXT) | instid1(VALU_DEP_3)
	v_cndmask_b32_e64 v3, v3, |v35|, vcc_lo
	v_cndmask_b32_e32 v0, v0, v35, vcc_lo
	s_waitcnt vmcnt(2)
	s_delay_alu instid0(VALU_DEP_2) | instskip(NEXT) | instid1(VALU_DEP_1)
	v_cmp_lt_f32_e64 vcc_lo, v3, |v36|
	v_cndmask_b32_e64 v3, v3, |v36|, vcc_lo
	s_delay_alu instid0(VALU_DEP_3) | instskip(NEXT) | instid1(VALU_DEP_2)
	v_cndmask_b32_e32 v0, v0, v36, vcc_lo
	v_cmp_lt_f32_e64 vcc_lo, v3, |v37|
	s_delay_alu instid0(VALU_DEP_1) | instskip(NEXT) | instid1(VALU_DEP_3)
	v_cndmask_b32_e64 v3, v3, |v37|, vcc_lo
	v_cndmask_b32_e32 v0, v0, v37, vcc_lo
	s_delay_alu instid0(VALU_DEP_2) | instskip(NEXT) | instid1(VALU_DEP_1)
	v_cmp_lt_f32_e64 vcc_lo, v3, |v38|
	v_cndmask_b32_e64 v3, v3, |v38|, vcc_lo
	s_delay_alu instid0(VALU_DEP_3) | instskip(NEXT) | instid1(VALU_DEP_2)
	v_cndmask_b32_e32 v0, v0, v38, vcc_lo
	v_cmp_lt_f32_e64 vcc_lo, v3, |v39|
	s_delay_alu instid0(VALU_DEP_1) | instskip(NEXT) | instid1(VALU_DEP_3)
	v_cndmask_b32_e64 v3, v3, |v39|, vcc_lo
	v_cndmask_b32_e32 v0, v0, v39, vcc_lo
	s_waitcnt vmcnt(1)
	s_delay_alu instid0(VALU_DEP_2) | instskip(NEXT) | instid1(VALU_DEP_1)
	v_cmp_lt_f32_e64 vcc_lo, v3, |v40|
	v_cndmask_b32_e64 v3, v3, |v40|, vcc_lo
	s_delay_alu instid0(VALU_DEP_3) | instskip(NEXT) | instid1(VALU_DEP_2)
	v_cndmask_b32_e32 v0, v0, v40, vcc_lo
	v_cmp_lt_f32_e64 vcc_lo, v3, |v41|
	s_delay_alu instid0(VALU_DEP_1) | instskip(NEXT) | instid1(VALU_DEP_3)
	v_cndmask_b32_e64 v3, v3, |v41|, vcc_lo
	v_cndmask_b32_e32 v0, v0, v41, vcc_lo
	s_delay_alu instid0(VALU_DEP_2) | instskip(NEXT) | instid1(VALU_DEP_1)
	v_cmp_lt_f32_e64 vcc_lo, v3, |v42|
	v_cndmask_b32_e64 v3, v3, |v42|, vcc_lo
	s_delay_alu instid0(VALU_DEP_3) | instskip(NEXT) | instid1(VALU_DEP_2)
	v_cndmask_b32_e32 v0, v0, v42, vcc_lo
	v_cmp_lt_f32_e64 vcc_lo, v3, |v43|
	s_delay_alu instid0(VALU_DEP_1) | instskip(NEXT) | instid1(VALU_DEP_3)
	v_cndmask_b32_e64 v3, v3, |v43|, vcc_lo
	v_cndmask_b32_e32 v0, v0, v43, vcc_lo
	s_waitcnt vmcnt(0)
	s_delay_alu instid0(VALU_DEP_2) | instskip(NEXT) | instid1(VALU_DEP_1)
	v_cmp_lt_f32_e64 vcc_lo, v3, |v44|
	v_cndmask_b32_e64 v3, v3, |v44|, vcc_lo
	s_delay_alu instid0(VALU_DEP_3) | instskip(NEXT) | instid1(VALU_DEP_2)
	v_cndmask_b32_e32 v0, v0, v44, vcc_lo
	v_cmp_lt_f32_e64 vcc_lo, v3, |v45|
	s_delay_alu instid0(VALU_DEP_1) | instskip(NEXT) | instid1(VALU_DEP_3)
	v_cndmask_b32_e64 v3, v3, |v45|, vcc_lo
	v_cndmask_b32_e32 v0, v0, v45, vcc_lo
	s_delay_alu instid0(VALU_DEP_2) | instskip(NEXT) | instid1(VALU_DEP_1)
	v_cmp_lt_f32_e64 vcc_lo, v3, |v46|
	v_cndmask_b32_e64 v3, v3, |v46|, vcc_lo
	s_delay_alu instid0(VALU_DEP_3) | instskip(NEXT) | instid1(VALU_DEP_2)
	v_cndmask_b32_e32 v0, v0, v46, vcc_lo
	v_cmp_lt_f32_e64 vcc_lo, v3, |v47|
	s_delay_alu instid0(VALU_DEP_2) | instskip(NEXT) | instid1(VALU_DEP_1)
	v_cndmask_b32_e32 v0, v0, v47, vcc_lo
	v_div_scale_f32 v3, null, 0xc2fe0000, 0xc2fe0000, v0
	v_div_scale_f32 v18, vcc_lo, v0, 0xc2fe0000, v0
	s_delay_alu instid0(VALU_DEP_2) | instskip(SKIP_2) | instid1(VALU_DEP_1)
	v_rcp_f32_e32 v12, v3
	s_waitcnt_depctr 0xfff
	v_fma_f32 v17, -v3, v12, 1.0
	v_fmac_f32_e32 v12, v17, v12
	s_delay_alu instid0(VALU_DEP_1) | instskip(NEXT) | instid1(VALU_DEP_1)
	v_mul_f32_e32 v13, v18, v12
	v_fma_f32 v14, -v3, v13, v18
	s_delay_alu instid0(VALU_DEP_1) | instskip(SKIP_1) | instid1(VALU_DEP_2)
	v_fmac_f32_e32 v13, v14, v12
	v_lshrrev_b32_e32 v14, 27, v15
	v_fma_f32 v3, -v3, v13, v18
	s_delay_alu instid0(VALU_DEP_2) | instskip(NEXT) | instid1(VALU_DEP_1)
	v_add_co_u32 v8, s2, v8, v14
	v_add_co_ci_u32_e64 v9, s2, 0, v9, s2
	s_delay_alu instid0(VALU_DEP_3) | instskip(NEXT) | instid1(VALU_DEP_2)
	v_div_fmas_f32 v3, v3, v12, v13
	v_ashrrev_i64 v[8:9], 5, v[8:9]
	s_delay_alu instid0(VALU_DEP_2) | instskip(NEXT) | instid1(VALU_DEP_2)
	v_div_fixup_f32 v0, v3, 0xc2fe0000, v0
	v_mul_lo_u32 v14, v8, s47
	s_delay_alu instid0(VALU_DEP_2) | instskip(NEXT) | instid1(VALU_DEP_4)
	v_div_scale_f32 v3, null, v0, v0, 1.0
	v_mul_lo_u32 v9, v9, s46
	v_mad_u64_u32 v[12:13], null, v8, s46, s[18:19]
	s_delay_alu instid0(VALU_DEP_3) | instskip(NEXT) | instid1(VALU_DEP_1)
	v_rcp_f32_e32 v15, v3
	v_add3_u32 v13, v9, v13, v14
	v_mul_lo_u32 v14, v10, s49
	s_waitcnt_depctr 0xfff
	v_fma_f32 v16, -v3, v15, 1.0
	v_mad_u64_u32 v[8:9], null, v10, s48, v[12:13]
	v_div_scale_f32 v12, vcc_lo, 1.0, v0, 1.0
	s_delay_alu instid0(VALU_DEP_3) | instskip(NEXT) | instid1(VALU_DEP_3)
	v_fmac_f32_e32 v15, v16, v15
	v_add3_u32 v9, v11, v9, v14
	s_delay_alu instid0(VALU_DEP_2) | instskip(SKIP_1) | instid1(VALU_DEP_3)
	v_mul_f32_e32 v13, v12, v15
	v_mul_lo_u32 v14, v4, s51
	v_mad_u64_u32 v[10:11], null, v4, s50, v[8:9]
	s_delay_alu instid0(VALU_DEP_3) | instskip(SKIP_2) | instid1(VALU_DEP_2)
	v_fma_f32 v4, -v3, v13, v12
	v_mul_lo_u32 v8, v6, s1
	s_mov_b32 s1, 0
	v_fmac_f32_e32 v13, v4, v15
	s_delay_alu instid0(VALU_DEP_4) | instskip(NEXT) | instid1(VALU_DEP_2)
	v_add3_u32 v11, v5, v11, v14
	v_fma_f32 v5, -v3, v13, v12
	s_delay_alu instid0(VALU_DEP_2) | instskip(SKIP_1) | instid1(VALU_DEP_2)
	v_mad_u64_u32 v[3:4], null, v6, s0, v[10:11]
	s_mov_b32 s0, s1
	v_div_fmas_f32 v6, v5, v15, v13
	v_mov_b32_e32 v5, 0
	s_delay_alu instid0(VALU_DEP_3) | instskip(NEXT) | instid1(VALU_DEP_4)
	v_add3_u32 v4, v7, v4, v8
	v_add_co_u32 v7, vcc_lo, v3, 2
	s_delay_alu instid0(VALU_DEP_4) | instskip(NEXT) | instid1(VALU_DEP_3)
	v_div_fixup_f32 v6, v6, v0, 1.0
	v_add_co_ci_u32_e32 v8, vcc_lo, 0, v4, vcc_lo
	v_cmp_neq_f32_e32 vcc_lo, 0, v0
	s_delay_alu instid0(VALU_DEP_3)
	v_dual_cndmask_b32 v9, 0, v6 :: v_dual_mov_b32 v6, 0
	s_branch .LBB10_28
.LBB10_26:                              ;   in Loop: Header=BB10_28 Depth=1
	s_or_b32 exec_lo, exec_lo, s5
.LBB10_27:                              ;   in Loop: Header=BB10_28 Depth=1
	s_delay_alu instid0(SALU_CYCLE_1) | instskip(NEXT) | instid1(VALU_DEP_1)
	s_or_b32 exec_lo, exec_lo, s4
	v_dual_mul_f32 v16, v11, v11 :: v_dual_and_b32 v13, 0xff, v14
	v_and_b32_e32 v15, 0xff, v12
	s_getpc_b64 s[2:3]
	s_add_u32 s2, s2, _ZL13kvalues_iq4nl@rel32@lo+4
	s_addc_u32 s3, s3, _ZL13kvalues_iq4nl@rel32@hi+12
	v_lshl_or_b32 v12, v14, 4, v12
	s_clause 0x1
	global_load_i8 v13, v13, s[2:3]
	global_load_i8 v15, v15, s[2:3]
	s_waitcnt vmcnt(1)
	v_cvt_f32_i32_e32 v13, v13
	s_waitcnt vmcnt(0)
	v_cvt_f32_i32_e32 v15, v15
	s_delay_alu instid0(VALU_DEP_2) | instskip(NEXT) | instid1(VALU_DEP_1)
	v_dual_mul_f32 v16, v16, v13 :: v_dual_mul_f32 v17, v10, v10
	v_dual_mul_f32 v18, v11, v16 :: v_dual_mul_f32 v17, v17, v15
	v_mul_f32_e32 v13, v16, v13
	s_delay_alu instid0(VALU_DEP_1) | instskip(NEXT) | instid1(VALU_DEP_1)
	v_fmac_f32_e32 v13, v17, v15
	v_add_f32_e32 v6, v6, v13
	s_delay_alu instid0(VALU_DEP_4) | instskip(SKIP_2) | instid1(VALU_DEP_3)
	v_fmac_f32_e32 v18, v10, v17
	v_add_co_u32 v10, vcc_lo, v7, s0
	v_add_co_ci_u32_e32 v11, vcc_lo, 0, v8, vcc_lo
	v_add_f32_e32 v5, v5, v18
	s_add_i32 s0, s0, 1
	s_delay_alu instid0(SALU_CYCLE_1)
	s_cmp_lg_u32 s0, 16
	global_store_b8 v[10:11], v12, off
	s_cbranch_scc0 .LBB10_39
.LBB10_28:                              ; =>This Loop Header: Depth=1
                                        ;     Child Loop BB10_31 Depth 2
                                        ;     Child Loop BB10_37 Depth 2
	s_lshl_b64 s[2:3], s[0:1], 2
	s_mov_b32 s4, exec_lo
	v_add_co_u32 v11, vcc_lo, v1, s2
	v_add_co_ci_u32_e32 v12, vcc_lo, s3, v2, vcc_lo
	s_clause 0x1
	global_load_b32 v10, v[11:12], off
	global_load_b32 v11, v[11:12], off offset:64
	s_waitcnt vmcnt(1)
	v_dual_mov_b32 v12, 0 :: v_dual_mul_f32 v13, v9, v10
	s_delay_alu instid0(VALU_DEP_1)
	v_cmpx_nge_f32_e32 0xc2fe0000, v13
	s_cbranch_execz .LBB10_34
; %bb.29:                               ;   in Loop: Header=BB10_28 Depth=1
	v_mov_b32_e32 v12, 15
	s_mov_b32 s5, exec_lo
	v_cmpx_nle_f32_e32 0x42e20000, v13
	s_cbranch_execz .LBB10_33
; %bb.30:                               ;   in Loop: Header=BB10_28 Depth=1
	v_mov_b32_e32 v12, 15
	v_mov_b32_e32 v14, 0
	s_mov_b32 s6, 0
	.p2align	6
.LBB10_31:                              ;   Parent Loop BB10_28 Depth=1
                                        ; =>  This Inner Loop Header: Depth=2
	s_delay_alu instid0(VALU_DEP_1) | instskip(SKIP_3) | instid1(VALU_DEP_1)
	v_add_nc_u32_e32 v15, v14, v12
	s_getpc_b64 s[2:3]
	s_add_u32 s2, s2, _ZL13kvalues_iq4nl@rel32@lo+4
	s_addc_u32 s3, s3, _ZL13kvalues_iq4nl@rel32@hi+12
	v_lshrrev_b32_e32 v16, 31, v15
	s_delay_alu instid0(VALU_DEP_1) | instskip(NEXT) | instid1(VALU_DEP_1)
	v_add_nc_u32_e32 v15, v15, v16
	v_ashrrev_i32_e32 v17, 1, v15
	s_delay_alu instid0(VALU_DEP_1) | instskip(SKIP_1) | instid1(VALU_DEP_2)
	v_ashrrev_i32_e32 v16, 31, v17
	v_add_co_u32 v15, vcc_lo, v17, s2
	v_add_co_ci_u32_e32 v16, vcc_lo, s3, v16, vcc_lo
	global_load_i8 v15, v[15:16], off
	s_waitcnt vmcnt(0)
	v_cvt_f32_i32_e32 v15, v15
	s_delay_alu instid0(VALU_DEP_1) | instskip(SKIP_2) | instid1(VALU_DEP_1)
	v_cmp_lt_f32_e32 vcc_lo, v13, v15
	v_cndmask_b32_e32 v12, v12, v17, vcc_lo
	v_cndmask_b32_e32 v14, v17, v14, vcc_lo
	v_sub_nc_u32_e32 v15, v12, v14
	s_delay_alu instid0(VALU_DEP_1) | instskip(SKIP_1) | instid1(SALU_CYCLE_1)
	v_cmp_gt_i32_e32 vcc_lo, 2, v15
	s_or_b32 s6, vcc_lo, s6
	s_and_not1_b32 exec_lo, exec_lo, s6
	s_cbranch_execnz .LBB10_31
; %bb.32:                               ;   in Loop: Header=BB10_28 Depth=1
	s_or_b32 exec_lo, exec_lo, s6
	v_add_nc_u32_e32 v18, -1, v12
	v_ashrrev_i32_e32 v17, 31, v12
	s_delay_alu instid0(VALU_DEP_2) | instskip(SKIP_1) | instid1(VALU_DEP_2)
	v_ashrrev_i32_e32 v15, 31, v18
	v_add_co_u32 v14, vcc_lo, v18, s2
	v_add_co_ci_u32_e32 v15, vcc_lo, s3, v15, vcc_lo
	v_add_co_u32 v16, vcc_lo, v12, s2
	v_add_co_ci_u32_e32 v17, vcc_lo, s3, v17, vcc_lo
	s_clause 0x1
	global_load_i8 v14, v[14:15], off
	global_load_i8 v15, v[16:17], off
	s_waitcnt vmcnt(1)
	v_cvt_f32_i32_e32 v14, v14
	s_waitcnt vmcnt(0)
	v_cvt_f32_i32_e32 v15, v15
	s_delay_alu instid0(VALU_DEP_1) | instskip(NEXT) | instid1(VALU_DEP_1)
	v_dual_sub_f32 v14, v13, v14 :: v_dual_sub_f32 v13, v15, v13
	v_cmp_lt_f32_e32 vcc_lo, v14, v13
	v_cndmask_b32_e32 v12, v12, v18, vcc_lo
.LBB10_33:                              ;   in Loop: Header=BB10_28 Depth=1
	s_or_b32 exec_lo, exec_lo, s5
.LBB10_34:                              ;   in Loop: Header=BB10_28 Depth=1
	s_delay_alu instid0(SALU_CYCLE_1) | instskip(SKIP_3) | instid1(VALU_DEP_1)
	s_or_b32 exec_lo, exec_lo, s4
	s_waitcnt vmcnt(0)
	v_dual_mul_f32 v13, v9, v11 :: v_dual_mov_b32 v14, 0
	s_mov_b32 s4, exec_lo
	v_cmpx_nge_f32_e32 0xc2fe0000, v13
	s_cbranch_execz .LBB10_27
; %bb.35:                               ;   in Loop: Header=BB10_28 Depth=1
	v_mov_b32_e32 v14, 15
	s_mov_b32 s5, exec_lo
	v_cmpx_nle_f32_e32 0x42e20000, v13
	s_cbranch_execz .LBB10_26
; %bb.36:                               ;   in Loop: Header=BB10_28 Depth=1
	v_dual_mov_b32 v14, 15 :: v_dual_mov_b32 v15, 0
	s_mov_b32 s6, 0
	.p2align	6
.LBB10_37:                              ;   Parent Loop BB10_28 Depth=1
                                        ; =>  This Inner Loop Header: Depth=2
	s_delay_alu instid0(VALU_DEP_1) | instskip(SKIP_3) | instid1(VALU_DEP_1)
	v_add_nc_u32_e32 v16, v15, v14
	s_getpc_b64 s[2:3]
	s_add_u32 s2, s2, _ZL13kvalues_iq4nl@rel32@lo+4
	s_addc_u32 s3, s3, _ZL13kvalues_iq4nl@rel32@hi+12
	v_lshrrev_b32_e32 v17, 31, v16
	s_delay_alu instid0(VALU_DEP_1) | instskip(NEXT) | instid1(VALU_DEP_1)
	v_add_nc_u32_e32 v16, v16, v17
	v_ashrrev_i32_e32 v18, 1, v16
	s_delay_alu instid0(VALU_DEP_1) | instskip(SKIP_1) | instid1(VALU_DEP_2)
	v_ashrrev_i32_e32 v17, 31, v18
	v_add_co_u32 v16, vcc_lo, v18, s2
	v_add_co_ci_u32_e32 v17, vcc_lo, s3, v17, vcc_lo
	global_load_i8 v16, v[16:17], off
	s_waitcnt vmcnt(0)
	v_cvt_f32_i32_e32 v16, v16
	s_delay_alu instid0(VALU_DEP_1) | instskip(SKIP_2) | instid1(VALU_DEP_1)
	v_cmp_lt_f32_e32 vcc_lo, v13, v16
	v_cndmask_b32_e32 v15, v18, v15, vcc_lo
	v_cndmask_b32_e32 v14, v14, v18, vcc_lo
	v_sub_nc_u32_e32 v16, v14, v15
	s_delay_alu instid0(VALU_DEP_1) | instskip(SKIP_1) | instid1(SALU_CYCLE_1)
	v_cmp_gt_i32_e32 vcc_lo, 2, v16
	s_or_b32 s6, vcc_lo, s6
	s_and_not1_b32 exec_lo, exec_lo, s6
	s_cbranch_execnz .LBB10_37
; %bb.38:                               ;   in Loop: Header=BB10_28 Depth=1
	s_or_b32 exec_lo, exec_lo, s6
	v_add_nc_u32_e32 v19, -1, v14
	v_ashrrev_i32_e32 v18, 31, v14
	s_delay_alu instid0(VALU_DEP_2) | instskip(SKIP_1) | instid1(VALU_DEP_2)
	v_ashrrev_i32_e32 v16, 31, v19
	v_add_co_u32 v15, vcc_lo, v19, s2
	v_add_co_ci_u32_e32 v16, vcc_lo, s3, v16, vcc_lo
	v_add_co_u32 v17, vcc_lo, v14, s2
	v_add_co_ci_u32_e32 v18, vcc_lo, s3, v18, vcc_lo
	s_clause 0x1
	global_load_i8 v15, v[15:16], off
	global_load_i8 v16, v[17:18], off
	s_waitcnt vmcnt(1)
	v_cvt_f32_i32_e32 v15, v15
	s_waitcnt vmcnt(0)
	v_cvt_f32_i32_e32 v16, v16
	s_delay_alu instid0(VALU_DEP_2) | instskip(NEXT) | instid1(VALU_DEP_2)
	v_sub_f32_e32 v15, v13, v15
	v_sub_f32_e32 v13, v16, v13
	s_delay_alu instid0(VALU_DEP_1)
	v_cmp_lt_f32_e32 vcc_lo, v15, v13
	v_cndmask_b32_e32 v14, v14, v19, vcc_lo
	s_branch .LBB10_26
.LBB10_39:
	v_div_scale_f32 v1, null, v6, v6, v5
	s_delay_alu instid0(VALU_DEP_1) | instskip(SKIP_2) | instid1(VALU_DEP_1)
	v_rcp_f32_e32 v2, v1
	s_waitcnt_depctr 0xfff
	v_fma_f32 v7, -v1, v2, 1.0
	v_fmac_f32_e32 v2, v7, v2
	v_div_scale_f32 v7, vcc_lo, v5, v6, v5
	s_delay_alu instid0(VALU_DEP_1) | instskip(NEXT) | instid1(VALU_DEP_1)
	v_mul_f32_e32 v8, v7, v2
	v_fma_f32 v9, -v1, v8, v7
	s_delay_alu instid0(VALU_DEP_1) | instskip(NEXT) | instid1(VALU_DEP_1)
	v_fmac_f32_e32 v8, v9, v2
	v_fma_f32 v1, -v1, v8, v7
	s_delay_alu instid0(VALU_DEP_1) | instskip(SKIP_1) | instid1(VALU_DEP_2)
	v_div_fmas_f32 v1, v1, v2, v8
	v_cmp_lt_f32_e32 vcc_lo, 0, v6
	v_div_fixup_f32 v1, v1, v6, v5
	s_delay_alu instid0(VALU_DEP_1) | instskip(NEXT) | instid1(VALU_DEP_1)
	v_cndmask_b32_e32 v0, v0, v1, vcc_lo
	v_cvt_f16_f32_e32 v0, v0
	global_store_b16 v[3:4], v0, off
.LBB10_40:
	s_nop 0
	s_sendmsg sendmsg(MSG_DEALLOC_VGPRS)
	s_endpgm
	.section	.rodata,"a",@progbits
	.p2align	6, 0x0
	.amdhsa_kernel _ZL9cpy_f32_qIXadL_ZL19cpy_blck_f32_iq4_nlPKcPcEELi32EEvS1_S2_lllllllllllllll
		.amdhsa_group_segment_fixed_size 0
		.amdhsa_private_segment_fixed_size 0
		.amdhsa_kernarg_size 392
		.amdhsa_user_sgpr_count 15
		.amdhsa_user_sgpr_dispatch_ptr 0
		.amdhsa_user_sgpr_queue_ptr 0
		.amdhsa_user_sgpr_kernarg_segment_ptr 1
		.amdhsa_user_sgpr_dispatch_id 0
		.amdhsa_user_sgpr_private_segment_size 0
		.amdhsa_wavefront_size32 1
		.amdhsa_uses_dynamic_stack 0
		.amdhsa_enable_private_segment 0
		.amdhsa_system_sgpr_workgroup_id_x 1
		.amdhsa_system_sgpr_workgroup_id_y 0
		.amdhsa_system_sgpr_workgroup_id_z 0
		.amdhsa_system_sgpr_workgroup_info 0
		.amdhsa_system_vgpr_workitem_id 0
		.amdhsa_next_free_vgpr 48
		.amdhsa_next_free_sgpr 52
		.amdhsa_reserve_vcc 1
		.amdhsa_float_round_mode_32 0
		.amdhsa_float_round_mode_16_64 0
		.amdhsa_float_denorm_mode_32 3
		.amdhsa_float_denorm_mode_16_64 3
		.amdhsa_dx10_clamp 1
		.amdhsa_ieee_mode 1
		.amdhsa_fp16_overflow 0
		.amdhsa_workgroup_processor_mode 1
		.amdhsa_memory_ordered 1
		.amdhsa_forward_progress 0
		.amdhsa_shared_vgpr_count 0
		.amdhsa_exception_fp_ieee_invalid_op 0
		.amdhsa_exception_fp_denorm_src 0
		.amdhsa_exception_fp_ieee_div_zero 0
		.amdhsa_exception_fp_ieee_overflow 0
		.amdhsa_exception_fp_ieee_underflow 0
		.amdhsa_exception_fp_ieee_inexact 0
		.amdhsa_exception_int_div_zero 0
	.end_amdhsa_kernel
	.section	.text._ZL9cpy_f32_qIXadL_ZL19cpy_blck_f32_iq4_nlPKcPcEELi32EEvS1_S2_lllllllllllllll,"axG",@progbits,_ZL9cpy_f32_qIXadL_ZL19cpy_blck_f32_iq4_nlPKcPcEELi32EEvS1_S2_lllllllllllllll,comdat
.Lfunc_end10:
	.size	_ZL9cpy_f32_qIXadL_ZL19cpy_blck_f32_iq4_nlPKcPcEELi32EEvS1_S2_lllllllllllllll, .Lfunc_end10-_ZL9cpy_f32_qIXadL_ZL19cpy_blck_f32_iq4_nlPKcPcEELi32EEvS1_S2_lllllllllllllll
                                        ; -- End function
	.section	.AMDGPU.csdata,"",@progbits
; Kernel info:
; codeLenInByte = 8856
; NumSgprs: 54
; NumVgprs: 48
; ScratchSize: 0
; MemoryBound: 0
; FloatMode: 240
; IeeeMode: 1
; LDSByteSize: 0 bytes/workgroup (compile time only)
; SGPRBlocks: 6
; VGPRBlocks: 5
; NumSGPRsForWavesPerEU: 54
; NumVGPRsForWavesPerEU: 48
; Occupancy: 16
; WaveLimiterHint : 0
; COMPUTE_PGM_RSRC2:SCRATCH_EN: 0
; COMPUTE_PGM_RSRC2:USER_SGPR: 15
; COMPUTE_PGM_RSRC2:TRAP_HANDLER: 0
; COMPUTE_PGM_RSRC2:TGID_X_EN: 1
; COMPUTE_PGM_RSRC2:TGID_Y_EN: 0
; COMPUTE_PGM_RSRC2:TGID_Z_EN: 0
; COMPUTE_PGM_RSRC2:TIDIG_COMP_CNT: 0
	.section	.text._ZL20cpy_scalar_transposeIfEvPKcPclllllllllllllll,"axG",@progbits,_ZL20cpy_scalar_transposeIfEvPKcPclllllllllllllll,comdat
	.globl	_ZL20cpy_scalar_transposeIfEvPKcPclllllllllllllll ; -- Begin function _ZL20cpy_scalar_transposeIfEvPKcPclllllllllllllll
	.p2align	8
	.type	_ZL20cpy_scalar_transposeIfEvPKcPclllllllllllllll,@function
_ZL20cpy_scalar_transposeIfEvPKcPclllllllllllllll: ; @_ZL20cpy_scalar_transposeIfEvPKcPclllllllllllllll
; %bb.0:
	s_clause 0x1
	s_load_b256 s[4:11], s[0:1], 0x0
	s_load_b64 s[16:17], s[0:1], 0x20
	s_waitcnt lgkmcnt(0)
	s_mul_i32 s0, s16, s11
	s_mul_hi_u32 s1, s16, s10
	s_mul_i32 s2, s17, s10
	s_add_i32 s0, s1, s0
	s_mul_i32 s18, s16, s10
	s_add_i32 s19, s0, s2
	s_delay_alu instid0(SALU_CYCLE_1) | instskip(SKIP_1) | instid1(SALU_CYCLE_1)
	s_or_b64 s[2:3], s[8:9], s[18:19]
	s_mov_b32 s2, 0
	s_cmp_lg_u64 s[2:3], 0
	s_cbranch_scc0 .LBB11_162
; %bb.1:
	s_ashr_i32 s20, s19, 31
	s_delay_alu instid0(SALU_CYCLE_1) | instskip(SKIP_2) | instid1(SALU_CYCLE_1)
	s_add_u32 s0, s18, s20
	s_mov_b32 s21, s20
	s_addc_u32 s1, s19, s20
	s_xor_b64 s[0:1], s[0:1], s[20:21]
	s_delay_alu instid0(SALU_CYCLE_1) | instskip(SKIP_3) | instid1(VALU_DEP_1)
	v_cvt_f32_u32_e32 v1, s0
	v_cvt_f32_u32_e32 v2, s1
	s_sub_u32 s22, 0, s0
	s_subb_u32 s23, 0, s1
	v_fmamk_f32 v1, v2, 0x4f800000, v1
	s_delay_alu instid0(VALU_DEP_1) | instskip(SKIP_2) | instid1(VALU_DEP_1)
	v_rcp_f32_e32 v1, v1
	s_waitcnt_depctr 0xfff
	v_mul_f32_e32 v1, 0x5f7ffffc, v1
	v_mul_f32_e32 v2, 0x2f800000, v1
	s_delay_alu instid0(VALU_DEP_1) | instskip(NEXT) | instid1(VALU_DEP_1)
	v_trunc_f32_e32 v2, v2
	v_fmamk_f32 v1, v2, 0xcf800000, v1
	v_cvt_u32_f32_e32 v2, v2
	s_delay_alu instid0(VALU_DEP_2) | instskip(NEXT) | instid1(VALU_DEP_2)
	v_cvt_u32_f32_e32 v1, v1
	v_readfirstlane_b32 s3, v2
	s_delay_alu instid0(VALU_DEP_2) | instskip(NEXT) | instid1(VALU_DEP_2)
	v_readfirstlane_b32 s12, v1
	s_mul_i32 s24, s22, s3
	s_delay_alu instid0(VALU_DEP_1)
	s_mul_hi_u32 s26, s22, s12
	s_mul_i32 s25, s23, s12
	s_add_i32 s24, s26, s24
	s_mul_i32 s27, s22, s12
	s_add_i32 s24, s24, s25
	s_mul_hi_u32 s26, s12, s27
	s_mul_hi_u32 s28, s3, s27
	s_mul_i32 s25, s3, s27
	s_mul_hi_u32 s27, s12, s24
	s_mul_i32 s12, s12, s24
	s_mul_hi_u32 s29, s3, s24
	s_add_u32 s12, s26, s12
	s_addc_u32 s26, 0, s27
	s_add_u32 s12, s12, s25
	s_mul_i32 s24, s3, s24
	s_addc_u32 s12, s26, s28
	s_addc_u32 s25, s29, 0
	s_add_u32 s12, s12, s24
	s_addc_u32 s24, 0, s25
	v_add_co_u32 v1, s12, v1, s12
	s_delay_alu instid0(VALU_DEP_1) | instskip(SKIP_1) | instid1(VALU_DEP_1)
	s_cmp_lg_u32 s12, 0
	s_addc_u32 s3, s3, s24
	v_readfirstlane_b32 s12, v1
	s_mul_i32 s24, s22, s3
	s_delay_alu instid0(VALU_DEP_1)
	s_mul_hi_u32 s25, s22, s12
	s_mul_i32 s23, s23, s12
	s_add_i32 s24, s25, s24
	s_mul_i32 s22, s22, s12
	s_add_i32 s24, s24, s23
	s_mul_hi_u32 s25, s3, s22
	s_mul_i32 s26, s3, s22
	s_mul_hi_u32 s22, s12, s22
	s_mul_hi_u32 s27, s12, s24
	s_mul_i32 s12, s12, s24
	s_mul_hi_u32 s23, s3, s24
	s_add_u32 s12, s22, s12
	s_addc_u32 s22, 0, s27
	s_add_u32 s12, s12, s26
	s_mul_i32 s24, s3, s24
	s_addc_u32 s12, s22, s25
	s_addc_u32 s22, s23, 0
	s_add_u32 s12, s12, s24
	s_addc_u32 s22, 0, s22
	v_add_co_u32 v1, s12, v1, s12
	s_delay_alu instid0(VALU_DEP_1) | instskip(SKIP_2) | instid1(SALU_CYCLE_1)
	s_cmp_lg_u32 s12, 0
	s_addc_u32 s3, s3, s22
	s_ashr_i32 s22, s9, 31
	s_add_u32 s24, s8, s22
	s_addc_u32 s25, s9, s22
	v_readfirstlane_b32 s9, v1
	s_mov_b32 s23, s22
	s_delay_alu instid0(SALU_CYCLE_1) | instskip(NEXT) | instid1(SALU_CYCLE_1)
	s_xor_b64 s[24:25], s[24:25], s[22:23]
	s_mul_i32 s26, s24, s3
	s_delay_alu instid0(VALU_DEP_1)
	s_mul_hi_u32 s27, s24, s9
	s_mul_hi_u32 s12, s24, s3
	;; [unrolled: 1-line block ×3, first 2 shown]
	s_mul_i32 s9, s25, s9
	s_add_u32 s26, s27, s26
	s_addc_u32 s12, 0, s12
	s_mul_hi_u32 s28, s25, s3
	s_add_u32 s9, s26, s9
	s_mul_i32 s3, s25, s3
	s_addc_u32 s9, s12, s29
	s_addc_u32 s12, s28, 0
	s_add_u32 s3, s9, s3
	s_addc_u32 s9, 0, s12
	s_mul_i32 s28, s0, s3
	s_mul_hi_u32 s12, s0, s3
	s_mul_i32 s27, s0, s9
	v_sub_co_u32 v1, s24, s24, s28
	s_mul_i32 s26, s1, s3
	s_add_i32 s12, s12, s27
	s_delay_alu instid0(SALU_CYCLE_1) | instskip(NEXT) | instid1(VALU_DEP_1)
	s_add_i32 s12, s12, s26
	v_sub_co_u32 v2, s27, v1, s0
	s_sub_i32 s26, s25, s12
	s_cmp_lg_u32 s24, 0
	s_subb_u32 s26, s26, s1
	s_cmp_lg_u32 s27, 0
	v_cmp_le_u32_e32 vcc_lo, s0, v2
	s_subb_u32 s26, s26, 0
	s_delay_alu instid0(SALU_CYCLE_1)
	s_cmp_ge_u32 s26, s1
	v_cndmask_b32_e64 v2, 0, -1, vcc_lo
	s_cselect_b32 s27, -1, 0
	s_cmp_eq_u32 s26, s1
	s_cselect_b32 vcc_lo, -1, 0
	s_add_u32 s26, s3, 1
	v_cndmask_b32_e32 v2, s27, v2, vcc_lo
	s_addc_u32 s27, s9, 0
	s_add_u32 s28, s3, 2
	s_addc_u32 s29, s9, 0
	v_mov_b32_e32 v3, s28
	s_cmp_lg_u32 s24, 0
	v_cmp_le_u32_e32 vcc_lo, s0, v1
	s_subb_u32 s0, s25, s12
	s_delay_alu instid0(SALU_CYCLE_1)
	s_cmp_ge_u32 s0, s1
	v_cndmask_b32_e64 v1, 0, -1, vcc_lo
	s_cselect_b32 s12, -1, 0
	s_cmp_eq_u32 s0, s1
	v_cmp_ne_u32_e32 vcc_lo, 0, v2
	s_cselect_b32 s0, -1, 0
	v_mov_b32_e32 v2, s29
	v_cndmask_b32_e64 v1, s12, v1, s0
	s_xor_b64 s[0:1], s[22:23], s[20:21]
	v_cndmask_b32_e32 v3, s26, v3, vcc_lo
	s_delay_alu instid0(VALU_DEP_3) | instskip(NEXT) | instid1(VALU_DEP_3)
	v_cndmask_b32_e32 v2, s27, v2, vcc_lo
	v_cmp_ne_u32_e32 vcc_lo, 0, v1
	s_delay_alu instid0(VALU_DEP_2) | instskip(NEXT) | instid1(VALU_DEP_4)
	v_cndmask_b32_e32 v1, s9, v2, vcc_lo
	v_cndmask_b32_e32 v2, s3, v3, vcc_lo
	s_delay_alu instid0(VALU_DEP_2) | instskip(NEXT) | instid1(VALU_DEP_2)
	v_xor_b32_e32 v1, s1, v1
	v_xor_b32_e32 v2, s0, v2
	s_delay_alu instid0(VALU_DEP_1) | instskip(NEXT) | instid1(VALU_DEP_3)
	v_sub_co_u32 v4, vcc_lo, v2, s0
	v_subrev_co_ci_u32_e32 v5, vcc_lo, s1, v1, vcc_lo
	s_and_not1_b32 vcc_lo, exec_lo, s2
	s_cbranch_vccnz .LBB11_3
.LBB11_2:
	v_cvt_f32_u32_e32 v1, s18
	s_sub_i32 s1, 0, s18
	s_delay_alu instid0(VALU_DEP_1) | instskip(SKIP_2) | instid1(VALU_DEP_1)
	v_rcp_iflag_f32_e32 v1, v1
	s_waitcnt_depctr 0xfff
	v_mul_f32_e32 v1, 0x4f7ffffe, v1
	v_cvt_u32_f32_e32 v1, v1
	s_delay_alu instid0(VALU_DEP_1) | instskip(NEXT) | instid1(VALU_DEP_1)
	v_readfirstlane_b32 s0, v1
	s_mul_i32 s1, s1, s0
	s_delay_alu instid0(SALU_CYCLE_1) | instskip(NEXT) | instid1(SALU_CYCLE_1)
	s_mul_hi_u32 s1, s0, s1
	s_add_i32 s0, s0, s1
	s_delay_alu instid0(SALU_CYCLE_1) | instskip(NEXT) | instid1(SALU_CYCLE_1)
	s_mul_hi_u32 s0, s8, s0
	s_mul_i32 s1, s0, s18
	s_add_i32 s2, s0, 1
	s_sub_i32 s1, s8, s1
	s_delay_alu instid0(SALU_CYCLE_1)
	s_sub_i32 s3, s1, s18
	s_cmp_ge_u32 s1, s18
	s_cselect_b32 s0, s2, s0
	s_cselect_b32 s1, s3, s1
	s_add_i32 s2, s0, 1
	s_cmp_ge_u32 s1, s18
	s_mov_b32 s1, 0
	s_cselect_b32 s0, s2, s0
	s_delay_alu instid0(SALU_CYCLE_1)
	v_dual_mov_b32 v5, s1 :: v_dual_mov_b32 v4, s0
.LBB11_3:
	v_and_b32_e32 v8, 0x3ff, v0
	s_lshl_b32 s0, s13, 5
	s_lshl_b32 s1, s14, 5
	v_bfe_u32 v13, v0, 10, 10
	s_lshl_b32 s8, s15, 3
	v_add_nc_u32_e32 v6, s0, v8
	v_add_nc_u32_e32 v10, s1, v8
	s_mov_b32 s9, 0
	v_add_nc_u32_e32 v2, s1, v13
	v_cmp_lt_i64_e64 s2, s[8:9], v[4:5]
	v_ashrrev_i32_e32 v7, 31, v6
	v_ashrrev_i32_e32 v11, 31, v10
	v_add_nc_u32_e32 v0, s0, v13
	v_lshlrev_b32_e32 v9, 2, v13
	v_lshlrev_b32_e32 v12, 2, v8
	v_lshlrev_b64 v[14:15], 2, v[6:7]
	v_cmp_gt_i64_e64 s1, s[16:17], v[6:7]
	v_lshlrev_b64 v[6:7], 2, v[10:11]
	v_cmp_le_i64_e64 s0, s[10:11], v[10:11]
	s_delay_alu instid0(VALU_DEP_4) | instskip(SKIP_1) | instid1(VALU_DEP_4)
	v_add_co_u32 v14, vcc_lo, s4, v14
	v_add_co_ci_u32_e32 v15, vcc_lo, s5, v15, vcc_lo
	v_add_co_u32 v10, vcc_lo, s6, v6
	v_add_co_ci_u32_e32 v11, vcc_lo, s7, v7, vcc_lo
	s_and_b32 vcc_lo, exec_lo, s2
	s_cbranch_vccz .LBB11_22
; %bb.4:
	s_mul_i32 s3, s19, s8
	s_mul_hi_u32 s4, s18, s8
	s_delay_alu instid0(SALU_CYCLE_1)
	s_add_i32 s5, s4, s3
	s_mul_i32 s4, s18, s8
	s_and_saveexec_b32 s3, s1
	s_cbranch_execz .LBB11_13
; %bb.5:
	s_lshl_b64 s[6:7], s[4:5], 2
	v_ashrrev_i32_e32 v3, 31, v2
	v_add_co_u32 v1, vcc_lo, v14, s6
	v_add_co_ci_u32_e32 v16, vcc_lo, s7, v15, vcc_lo
	v_mad_u32_u24 v17, 0x84, v13, v12
	s_mov_b32 s6, exec_lo
	v_cmpx_gt_i64_e64 s[10:11], v[2:3]
	s_cbranch_execz .LBB11_7
; %bb.6:
	v_mul_lo_u32 v3, v3, s16
	v_mul_lo_u32 v18, v2, s17
	v_mad_u64_u32 v[6:7], null, v2, s16, 0
	s_delay_alu instid0(VALU_DEP_1) | instskip(NEXT) | instid1(VALU_DEP_1)
	v_add3_u32 v7, v7, v18, v3
	v_lshlrev_b64 v[6:7], 2, v[6:7]
	s_delay_alu instid0(VALU_DEP_1) | instskip(NEXT) | instid1(VALU_DEP_2)
	v_add_co_u32 v6, vcc_lo, v1, v6
	v_add_co_ci_u32_e32 v7, vcc_lo, v16, v7, vcc_lo
	global_load_b32 v3, v[6:7], off
	s_waitcnt vmcnt(0)
	ds_store_b32 v17, v3
.LBB11_7:
	s_or_b32 exec_lo, exec_lo, s6
	v_add_nc_u32_e32 v6, 8, v2
	s_mov_b32 s6, exec_lo
	s_delay_alu instid0(VALU_DEP_1) | instskip(NEXT) | instid1(VALU_DEP_1)
	v_ashrrev_i32_e32 v7, 31, v6
	v_cmpx_gt_i64_e64 s[10:11], v[6:7]
	s_cbranch_execz .LBB11_9
; %bb.8:
	v_mul_lo_u32 v3, v7, s16
	v_mul_lo_u32 v7, v6, s17
	v_mad_u64_u32 v[18:19], null, v6, s16, 0
	s_delay_alu instid0(VALU_DEP_1) | instskip(NEXT) | instid1(VALU_DEP_1)
	v_add3_u32 v19, v19, v7, v3
	v_lshlrev_b64 v[6:7], 2, v[18:19]
	s_delay_alu instid0(VALU_DEP_1) | instskip(NEXT) | instid1(VALU_DEP_2)
	v_add_co_u32 v6, vcc_lo, v1, v6
	v_add_co_ci_u32_e32 v7, vcc_lo, v16, v7, vcc_lo
	global_load_b32 v3, v[6:7], off
	s_waitcnt vmcnt(0)
	ds_store_b32 v17, v3 offset:1056
.LBB11_9:
	s_or_b32 exec_lo, exec_lo, s6
	v_add_nc_u32_e32 v6, 16, v2
	s_mov_b32 s6, exec_lo
	s_delay_alu instid0(VALU_DEP_1) | instskip(NEXT) | instid1(VALU_DEP_1)
	v_ashrrev_i32_e32 v7, 31, v6
	v_cmpx_gt_i64_e64 s[10:11], v[6:7]
	s_cbranch_execz .LBB11_11
; %bb.10:
	v_mul_lo_u32 v3, v7, s16
	v_mul_lo_u32 v7, v6, s17
	v_mad_u64_u32 v[18:19], null, v6, s16, 0
	s_delay_alu instid0(VALU_DEP_1) | instskip(NEXT) | instid1(VALU_DEP_1)
	v_add3_u32 v19, v19, v7, v3
	v_lshlrev_b64 v[6:7], 2, v[18:19]
	s_delay_alu instid0(VALU_DEP_1) | instskip(NEXT) | instid1(VALU_DEP_2)
	v_add_co_u32 v6, vcc_lo, v1, v6
	v_add_co_ci_u32_e32 v7, vcc_lo, v16, v7, vcc_lo
	global_load_b32 v3, v[6:7], off
	s_waitcnt vmcnt(0)
	ds_store_b32 v17, v3 offset:2112
.LBB11_11:
	s_or_b32 exec_lo, exec_lo, s6
	v_add_nc_u32_e32 v6, 24, v2
	s_delay_alu instid0(VALU_DEP_1) | instskip(NEXT) | instid1(VALU_DEP_1)
	v_ashrrev_i32_e32 v7, 31, v6
	v_cmp_gt_i64_e32 vcc_lo, s[10:11], v[6:7]
	s_and_b32 exec_lo, exec_lo, vcc_lo
	s_cbranch_execz .LBB11_13
; %bb.12:
	v_mul_lo_u32 v3, v7, s16
	v_mul_lo_u32 v7, v6, s17
	v_mad_u64_u32 v[18:19], null, v6, s16, 0
	s_delay_alu instid0(VALU_DEP_1) | instskip(NEXT) | instid1(VALU_DEP_1)
	v_add3_u32 v19, v19, v7, v3
	v_lshlrev_b64 v[6:7], 2, v[18:19]
	s_delay_alu instid0(VALU_DEP_1) | instskip(NEXT) | instid1(VALU_DEP_2)
	v_add_co_u32 v6, vcc_lo, v1, v6
	v_add_co_ci_u32_e32 v7, vcc_lo, v16, v7, vcc_lo
	global_load_b32 v1, v[6:7], off
	s_waitcnt vmcnt(0)
	ds_store_b32 v17, v1 offset:3168
.LBB11_13:
	s_or_b32 exec_lo, exec_lo, s3
	v_ashrrev_i32_e32 v1, 31, v0
	s_lshl_b64 s[4:5], s[4:5], 2
	v_mad_u32_u24 v3, 0x84, v8, v9
	v_add_co_u32 v16, s3, v10, s4
	s_delay_alu instid0(VALU_DEP_3)
	v_cmp_gt_i64_e32 vcc_lo, s[16:17], v[0:1]
	v_add_co_ci_u32_e64 v17, s3, s5, v11, s3
	s_xor_b32 s3, s0, -1
	s_waitcnt lgkmcnt(0)
	s_barrier
	s_and_b32 s5, vcc_lo, s3
	buffer_gl0_inv
	s_and_saveexec_b32 s4, s5
	s_cbranch_execz .LBB11_15
; %bb.14:
	v_mul_lo_u32 v1, v1, s10
	v_mul_lo_u32 v18, v0, s11
	v_mad_u64_u32 v[6:7], null, v0, s10, 0
	ds_load_b32 v19, v3
	v_add3_u32 v7, v7, v18, v1
	s_delay_alu instid0(VALU_DEP_1) | instskip(NEXT) | instid1(VALU_DEP_1)
	v_lshlrev_b64 v[6:7], 2, v[6:7]
	v_add_co_u32 v6, vcc_lo, v16, v6
	s_delay_alu instid0(VALU_DEP_2)
	v_add_co_ci_u32_e32 v7, vcc_lo, v17, v7, vcc_lo
	s_waitcnt lgkmcnt(0)
	global_store_b32 v[6:7], v19, off
.LBB11_15:
	s_or_b32 exec_lo, exec_lo, s4
	v_add_nc_u32_e32 v6, 8, v0
	s_delay_alu instid0(VALU_DEP_1) | instskip(NEXT) | instid1(VALU_DEP_1)
	v_ashrrev_i32_e32 v7, 31, v6
	v_cmp_gt_i64_e32 vcc_lo, s[16:17], v[6:7]
	s_and_b32 s5, vcc_lo, s3
	s_delay_alu instid0(SALU_CYCLE_1)
	s_and_saveexec_b32 s4, s5
	s_cbranch_execz .LBB11_17
; %bb.16:
	v_mul_lo_u32 v1, v7, s10
	v_mul_lo_u32 v7, v6, s11
	v_mad_u64_u32 v[18:19], null, v6, s10, 0
	ds_load_b32 v20, v3 offset:32
	v_add3_u32 v19, v19, v7, v1
	s_delay_alu instid0(VALU_DEP_1) | instskip(NEXT) | instid1(VALU_DEP_1)
	v_lshlrev_b64 v[6:7], 2, v[18:19]
	v_add_co_u32 v6, vcc_lo, v16, v6
	s_delay_alu instid0(VALU_DEP_2)
	v_add_co_ci_u32_e32 v7, vcc_lo, v17, v7, vcc_lo
	s_waitcnt lgkmcnt(0)
	global_store_b32 v[6:7], v20, off
.LBB11_17:
	s_or_b32 exec_lo, exec_lo, s4
	v_add_nc_u32_e32 v6, 16, v0
	s_delay_alu instid0(VALU_DEP_1) | instskip(NEXT) | instid1(VALU_DEP_1)
	v_ashrrev_i32_e32 v7, 31, v6
	v_cmp_gt_i64_e32 vcc_lo, s[16:17], v[6:7]
	s_and_b32 s5, vcc_lo, s3
	s_delay_alu instid0(SALU_CYCLE_1)
	s_and_saveexec_b32 s4, s5
	s_cbranch_execz .LBB11_19
; %bb.18:
	v_mul_lo_u32 v1, v7, s10
	v_mul_lo_u32 v7, v6, s11
	v_mad_u64_u32 v[18:19], null, v6, s10, 0
	ds_load_b32 v20, v3 offset:64
	v_add3_u32 v19, v19, v7, v1
	s_delay_alu instid0(VALU_DEP_1) | instskip(NEXT) | instid1(VALU_DEP_1)
	v_lshlrev_b64 v[6:7], 2, v[18:19]
	v_add_co_u32 v6, vcc_lo, v16, v6
	s_delay_alu instid0(VALU_DEP_2)
	v_add_co_ci_u32_e32 v7, vcc_lo, v17, v7, vcc_lo
	s_waitcnt lgkmcnt(0)
	global_store_b32 v[6:7], v20, off
.LBB11_19:
	s_or_b32 exec_lo, exec_lo, s4
	v_add_nc_u32_e32 v6, 24, v0
	s_delay_alu instid0(VALU_DEP_1) | instskip(NEXT) | instid1(VALU_DEP_1)
	v_ashrrev_i32_e32 v7, 31, v6
	v_cmp_gt_i64_e32 vcc_lo, s[16:17], v[6:7]
	s_and_b32 s4, vcc_lo, s3
	s_delay_alu instid0(SALU_CYCLE_1)
	s_and_saveexec_b32 s3, s4
	s_cbranch_execz .LBB11_21
; %bb.20:
	v_mul_lo_u32 v1, v7, s10
	v_mul_lo_u32 v7, v6, s11
	v_mad_u64_u32 v[18:19], null, v6, s10, 0
	ds_load_b32 v3, v3 offset:96
	v_add3_u32 v19, v19, v7, v1
	s_delay_alu instid0(VALU_DEP_1) | instskip(NEXT) | instid1(VALU_DEP_1)
	v_lshlrev_b64 v[6:7], 2, v[18:19]
	v_add_co_u32 v6, vcc_lo, v16, v6
	s_delay_alu instid0(VALU_DEP_2)
	v_add_co_ci_u32_e32 v7, vcc_lo, v17, v7, vcc_lo
	s_waitcnt lgkmcnt(0)
	global_store_b32 v[6:7], v3, off
.LBB11_21:
	s_or_b32 exec_lo, exec_lo, s3
	s_mov_b32 s9, 1
.LBB11_22:
	s_and_b32 vcc_lo, exec_lo, s2
	s_cbranch_vccz .LBB11_161
; %bb.23:
	s_or_b32 s4, s8, 1
	s_mov_b32 s5, 0
	s_delay_alu instid0(SALU_CYCLE_1)
	v_cmp_ge_u64_e32 vcc_lo, s[4:5], v[4:5]
	v_cmp_lt_u64_e64 s2, s[4:5], v[4:5]
	s_cbranch_vccnz .LBB11_42
; %bb.24:
	s_mul_i32 s3, s19, s4
	s_mul_hi_u32 s5, s18, s4
	s_mul_i32 s4, s18, s4
	s_add_i32 s5, s5, s3
	s_mul_i32 s6, s9, 0x1080
	s_and_saveexec_b32 s7, s1
	s_cbranch_execz .LBB11_33
; %bb.25:
	s_lshl_b64 s[12:13], s[4:5], 2
	v_ashrrev_i32_e32 v3, 31, v2
	v_add_co_u32 v1, s3, v14, s12
	s_delay_alu instid0(VALU_DEP_1) | instskip(SKIP_1) | instid1(VALU_DEP_3)
	v_add_co_ci_u32_e64 v16, s3, s13, v15, s3
	s_mov_b32 s3, exec_lo
	v_cmpx_gt_i64_e64 s[10:11], v[2:3]
	s_cbranch_execz .LBB11_27
; %bb.26:
	v_mul_lo_u32 v3, v3, s16
	v_mul_lo_u32 v17, v2, s17
	v_mad_u64_u32 v[6:7], null, v2, s16, 0
	s_delay_alu instid0(VALU_DEP_1) | instskip(NEXT) | instid1(VALU_DEP_1)
	v_add3_u32 v7, v7, v17, v3
	v_lshlrev_b64 v[6:7], 2, v[6:7]
	s_delay_alu instid0(VALU_DEP_1) | instskip(NEXT) | instid1(VALU_DEP_2)
	v_add_co_u32 v6, vcc_lo, v1, v6
	v_add_co_ci_u32_e32 v7, vcc_lo, v16, v7, vcc_lo
	global_load_b32 v3, v[6:7], off
	v_mul_u32_u24_e32 v6, 0x84, v13
	s_delay_alu instid0(VALU_DEP_1)
	v_add3_u32 v6, v12, s6, v6
	s_waitcnt vmcnt(0)
	ds_store_b32 v6, v3
.LBB11_27:
	s_or_b32 exec_lo, exec_lo, s3
	v_add_nc_u32_e32 v6, 8, v2
	s_mov_b32 s3, exec_lo
	s_delay_alu instid0(VALU_DEP_1) | instskip(NEXT) | instid1(VALU_DEP_1)
	v_ashrrev_i32_e32 v7, 31, v6
	v_cmpx_gt_i64_e64 s[10:11], v[6:7]
	s_cbranch_execz .LBB11_29
; %bb.28:
	v_mul_lo_u32 v3, v7, s16
	v_mul_lo_u32 v7, v6, s17
	v_mad_u64_u32 v[17:18], null, v6, s16, 0
	s_delay_alu instid0(VALU_DEP_1) | instskip(NEXT) | instid1(VALU_DEP_1)
	v_add3_u32 v18, v18, v7, v3
	v_lshlrev_b64 v[6:7], 2, v[17:18]
	s_delay_alu instid0(VALU_DEP_1) | instskip(NEXT) | instid1(VALU_DEP_2)
	v_add_co_u32 v6, vcc_lo, v1, v6
	v_add_co_ci_u32_e32 v7, vcc_lo, v16, v7, vcc_lo
	global_load_b32 v3, v[6:7], off
	v_mul_u32_u24_e32 v6, 0x84, v13
	s_delay_alu instid0(VALU_DEP_1)
	v_add3_u32 v6, v12, s6, v6
	s_waitcnt vmcnt(0)
	ds_store_b32 v6, v3 offset:1056
.LBB11_29:
	s_or_b32 exec_lo, exec_lo, s3
	v_add_nc_u32_e32 v6, 16, v2
	s_mov_b32 s3, exec_lo
	s_delay_alu instid0(VALU_DEP_1) | instskip(NEXT) | instid1(VALU_DEP_1)
	v_ashrrev_i32_e32 v7, 31, v6
	v_cmpx_gt_i64_e64 s[10:11], v[6:7]
	s_cbranch_execz .LBB11_31
; %bb.30:
	v_mul_lo_u32 v3, v7, s16
	v_mul_lo_u32 v7, v6, s17
	v_mad_u64_u32 v[17:18], null, v6, s16, 0
	s_delay_alu instid0(VALU_DEP_1) | instskip(NEXT) | instid1(VALU_DEP_1)
	v_add3_u32 v18, v18, v7, v3
	v_lshlrev_b64 v[6:7], 2, v[17:18]
	s_delay_alu instid0(VALU_DEP_1) | instskip(NEXT) | instid1(VALU_DEP_2)
	v_add_co_u32 v6, vcc_lo, v1, v6
	v_add_co_ci_u32_e32 v7, vcc_lo, v16, v7, vcc_lo
	global_load_b32 v3, v[6:7], off
	v_mul_u32_u24_e32 v6, 0x84, v13
	s_delay_alu instid0(VALU_DEP_1)
	v_add3_u32 v6, v12, s6, v6
	s_waitcnt vmcnt(0)
	ds_store_b32 v6, v3 offset:2112
.LBB11_31:
	s_or_b32 exec_lo, exec_lo, s3
	v_add_nc_u32_e32 v6, 24, v2
	s_delay_alu instid0(VALU_DEP_1) | instskip(NEXT) | instid1(VALU_DEP_1)
	v_ashrrev_i32_e32 v7, 31, v6
	v_cmp_gt_i64_e32 vcc_lo, s[10:11], v[6:7]
	s_and_b32 exec_lo, exec_lo, vcc_lo
	s_cbranch_execz .LBB11_33
; %bb.32:
	v_mul_lo_u32 v3, v7, s16
	v_mul_lo_u32 v7, v6, s17
	v_mad_u64_u32 v[17:18], null, v6, s16, 0
	s_delay_alu instid0(VALU_DEP_1) | instskip(SKIP_1) | instid1(VALU_DEP_2)
	v_add3_u32 v18, v18, v7, v3
	v_mul_u32_u24_e32 v3, 0x84, v13
	v_lshlrev_b64 v[6:7], 2, v[17:18]
	s_delay_alu instid0(VALU_DEP_2) | instskip(NEXT) | instid1(VALU_DEP_2)
	v_add3_u32 v3, v12, s6, v3
	v_add_co_u32 v6, vcc_lo, v1, v6
	s_delay_alu instid0(VALU_DEP_3)
	v_add_co_ci_u32_e32 v7, vcc_lo, v16, v7, vcc_lo
	global_load_b32 v1, v[6:7], off
	s_waitcnt vmcnt(0)
	ds_store_b32 v3, v1 offset:3168
.LBB11_33:
	s_or_b32 exec_lo, exec_lo, s7
	v_ashrrev_i32_e32 v1, 31, v0
	v_mul_u32_u24_e32 v3, 0x84, v8
	s_lshl_b64 s[4:5], s[4:5], 2
	s_waitcnt lgkmcnt(0)
	s_waitcnt_vscnt null, 0x0
	s_barrier
	v_cmp_gt_i64_e32 vcc_lo, s[16:17], v[0:1]
	v_add3_u32 v17, v9, s6, v3
	v_add_co_u32 v3, s3, v10, s4
	s_delay_alu instid0(VALU_DEP_1) | instskip(SKIP_3) | instid1(SALU_CYCLE_1)
	v_add_co_ci_u32_e64 v16, s3, s5, v11, s3
	s_xor_b32 s3, s0, -1
	buffer_gl0_inv
	s_and_b32 s5, vcc_lo, s3
	s_and_saveexec_b32 s4, s5
	s_cbranch_execz .LBB11_35
; %bb.34:
	v_mul_lo_u32 v1, v1, s10
	v_mul_lo_u32 v18, v0, s11
	v_mad_u64_u32 v[6:7], null, v0, s10, 0
	ds_load_b32 v19, v17
	v_add3_u32 v7, v7, v18, v1
	s_delay_alu instid0(VALU_DEP_1) | instskip(NEXT) | instid1(VALU_DEP_1)
	v_lshlrev_b64 v[6:7], 2, v[6:7]
	v_add_co_u32 v6, vcc_lo, v3, v6
	s_delay_alu instid0(VALU_DEP_2)
	v_add_co_ci_u32_e32 v7, vcc_lo, v16, v7, vcc_lo
	s_waitcnt lgkmcnt(0)
	global_store_b32 v[6:7], v19, off
.LBB11_35:
	s_or_b32 exec_lo, exec_lo, s4
	v_add_nc_u32_e32 v6, 8, v0
	s_delay_alu instid0(VALU_DEP_1) | instskip(NEXT) | instid1(VALU_DEP_1)
	v_ashrrev_i32_e32 v7, 31, v6
	v_cmp_gt_i64_e32 vcc_lo, s[16:17], v[6:7]
	s_and_b32 s5, vcc_lo, s3
	s_delay_alu instid0(SALU_CYCLE_1)
	s_and_saveexec_b32 s4, s5
	s_cbranch_execz .LBB11_37
; %bb.36:
	v_mul_lo_u32 v1, v7, s10
	v_mul_lo_u32 v7, v6, s11
	v_mad_u64_u32 v[18:19], null, v6, s10, 0
	ds_load_b32 v20, v17 offset:32
	v_add3_u32 v19, v19, v7, v1
	s_delay_alu instid0(VALU_DEP_1) | instskip(NEXT) | instid1(VALU_DEP_1)
	v_lshlrev_b64 v[6:7], 2, v[18:19]
	v_add_co_u32 v6, vcc_lo, v3, v6
	s_delay_alu instid0(VALU_DEP_2)
	v_add_co_ci_u32_e32 v7, vcc_lo, v16, v7, vcc_lo
	s_waitcnt lgkmcnt(0)
	global_store_b32 v[6:7], v20, off
.LBB11_37:
	s_or_b32 exec_lo, exec_lo, s4
	v_add_nc_u32_e32 v6, 16, v0
	s_delay_alu instid0(VALU_DEP_1) | instskip(NEXT) | instid1(VALU_DEP_1)
	v_ashrrev_i32_e32 v7, 31, v6
	v_cmp_gt_i64_e32 vcc_lo, s[16:17], v[6:7]
	s_and_b32 s5, vcc_lo, s3
	s_delay_alu instid0(SALU_CYCLE_1)
	s_and_saveexec_b32 s4, s5
	s_cbranch_execz .LBB11_39
; %bb.38:
	v_mul_lo_u32 v1, v7, s10
	v_mul_lo_u32 v7, v6, s11
	v_mad_u64_u32 v[18:19], null, v6, s10, 0
	ds_load_b32 v20, v17 offset:64
	v_add3_u32 v19, v19, v7, v1
	s_delay_alu instid0(VALU_DEP_1) | instskip(NEXT) | instid1(VALU_DEP_1)
	v_lshlrev_b64 v[6:7], 2, v[18:19]
	v_add_co_u32 v6, vcc_lo, v3, v6
	s_delay_alu instid0(VALU_DEP_2)
	v_add_co_ci_u32_e32 v7, vcc_lo, v16, v7, vcc_lo
	s_waitcnt lgkmcnt(0)
	global_store_b32 v[6:7], v20, off
.LBB11_39:
	;; [unrolled: 23-line block ×3, first 2 shown]
	s_or_b32 exec_lo, exec_lo, s3
	s_xor_b32 s9, s9, 1
.LBB11_42:
	s_delay_alu instid0(VALU_DEP_1)
	s_and_not1_b32 vcc_lo, exec_lo, s2
	s_cbranch_vccnz .LBB11_161
; %bb.43:
	s_or_b32 s4, s8, 2
	s_mov_b32 s5, 0
	s_delay_alu instid0(SALU_CYCLE_1)
	v_cmp_ge_u64_e32 vcc_lo, s[4:5], v[4:5]
	v_cmp_lt_u64_e64 s2, s[4:5], v[4:5]
	s_cbranch_vccnz .LBB11_62
; %bb.44:
	s_mul_i32 s3, s19, s4
	s_mul_hi_u32 s5, s18, s4
	s_mul_i32 s4, s18, s4
	s_add_i32 s5, s5, s3
	s_mul_i32 s6, s9, 0x1080
	s_and_saveexec_b32 s7, s1
	s_cbranch_execz .LBB11_53
; %bb.45:
	s_lshl_b64 s[12:13], s[4:5], 2
	v_ashrrev_i32_e32 v3, 31, v2
	v_add_co_u32 v1, s3, v14, s12
	s_delay_alu instid0(VALU_DEP_1) | instskip(SKIP_1) | instid1(VALU_DEP_3)
	v_add_co_ci_u32_e64 v16, s3, s13, v15, s3
	s_mov_b32 s3, exec_lo
	v_cmpx_gt_i64_e64 s[10:11], v[2:3]
	s_cbranch_execz .LBB11_47
; %bb.46:
	v_mul_lo_u32 v3, v3, s16
	v_mul_lo_u32 v17, v2, s17
	v_mad_u64_u32 v[6:7], null, v2, s16, 0
	s_delay_alu instid0(VALU_DEP_1) | instskip(NEXT) | instid1(VALU_DEP_1)
	v_add3_u32 v7, v7, v17, v3
	v_lshlrev_b64 v[6:7], 2, v[6:7]
	s_delay_alu instid0(VALU_DEP_1) | instskip(NEXT) | instid1(VALU_DEP_2)
	v_add_co_u32 v6, vcc_lo, v1, v6
	v_add_co_ci_u32_e32 v7, vcc_lo, v16, v7, vcc_lo
	global_load_b32 v3, v[6:7], off
	v_mul_u32_u24_e32 v6, 0x84, v13
	s_delay_alu instid0(VALU_DEP_1)
	v_add3_u32 v6, v12, s6, v6
	s_waitcnt vmcnt(0)
	ds_store_b32 v6, v3
.LBB11_47:
	s_or_b32 exec_lo, exec_lo, s3
	v_add_nc_u32_e32 v6, 8, v2
	s_mov_b32 s3, exec_lo
	s_delay_alu instid0(VALU_DEP_1) | instskip(NEXT) | instid1(VALU_DEP_1)
	v_ashrrev_i32_e32 v7, 31, v6
	v_cmpx_gt_i64_e64 s[10:11], v[6:7]
	s_cbranch_execz .LBB11_49
; %bb.48:
	v_mul_lo_u32 v3, v7, s16
	v_mul_lo_u32 v7, v6, s17
	v_mad_u64_u32 v[17:18], null, v6, s16, 0
	s_delay_alu instid0(VALU_DEP_1) | instskip(NEXT) | instid1(VALU_DEP_1)
	v_add3_u32 v18, v18, v7, v3
	v_lshlrev_b64 v[6:7], 2, v[17:18]
	s_delay_alu instid0(VALU_DEP_1) | instskip(NEXT) | instid1(VALU_DEP_2)
	v_add_co_u32 v6, vcc_lo, v1, v6
	v_add_co_ci_u32_e32 v7, vcc_lo, v16, v7, vcc_lo
	global_load_b32 v3, v[6:7], off
	v_mul_u32_u24_e32 v6, 0x84, v13
	s_delay_alu instid0(VALU_DEP_1)
	v_add3_u32 v6, v12, s6, v6
	s_waitcnt vmcnt(0)
	ds_store_b32 v6, v3 offset:1056
.LBB11_49:
	s_or_b32 exec_lo, exec_lo, s3
	v_add_nc_u32_e32 v6, 16, v2
	s_mov_b32 s3, exec_lo
	s_delay_alu instid0(VALU_DEP_1) | instskip(NEXT) | instid1(VALU_DEP_1)
	v_ashrrev_i32_e32 v7, 31, v6
	v_cmpx_gt_i64_e64 s[10:11], v[6:7]
	s_cbranch_execz .LBB11_51
; %bb.50:
	v_mul_lo_u32 v3, v7, s16
	v_mul_lo_u32 v7, v6, s17
	v_mad_u64_u32 v[17:18], null, v6, s16, 0
	s_delay_alu instid0(VALU_DEP_1) | instskip(NEXT) | instid1(VALU_DEP_1)
	v_add3_u32 v18, v18, v7, v3
	v_lshlrev_b64 v[6:7], 2, v[17:18]
	s_delay_alu instid0(VALU_DEP_1) | instskip(NEXT) | instid1(VALU_DEP_2)
	v_add_co_u32 v6, vcc_lo, v1, v6
	v_add_co_ci_u32_e32 v7, vcc_lo, v16, v7, vcc_lo
	global_load_b32 v3, v[6:7], off
	v_mul_u32_u24_e32 v6, 0x84, v13
	s_delay_alu instid0(VALU_DEP_1)
	v_add3_u32 v6, v12, s6, v6
	s_waitcnt vmcnt(0)
	ds_store_b32 v6, v3 offset:2112
.LBB11_51:
	s_or_b32 exec_lo, exec_lo, s3
	v_add_nc_u32_e32 v6, 24, v2
	s_delay_alu instid0(VALU_DEP_1) | instskip(NEXT) | instid1(VALU_DEP_1)
	v_ashrrev_i32_e32 v7, 31, v6
	v_cmp_gt_i64_e32 vcc_lo, s[10:11], v[6:7]
	s_and_b32 exec_lo, exec_lo, vcc_lo
	s_cbranch_execz .LBB11_53
; %bb.52:
	v_mul_lo_u32 v3, v7, s16
	v_mul_lo_u32 v7, v6, s17
	v_mad_u64_u32 v[17:18], null, v6, s16, 0
	s_delay_alu instid0(VALU_DEP_1) | instskip(SKIP_1) | instid1(VALU_DEP_2)
	v_add3_u32 v18, v18, v7, v3
	v_mul_u32_u24_e32 v3, 0x84, v13
	v_lshlrev_b64 v[6:7], 2, v[17:18]
	s_delay_alu instid0(VALU_DEP_2) | instskip(NEXT) | instid1(VALU_DEP_2)
	v_add3_u32 v3, v12, s6, v3
	v_add_co_u32 v6, vcc_lo, v1, v6
	s_delay_alu instid0(VALU_DEP_3)
	v_add_co_ci_u32_e32 v7, vcc_lo, v16, v7, vcc_lo
	global_load_b32 v1, v[6:7], off
	s_waitcnt vmcnt(0)
	ds_store_b32 v3, v1 offset:3168
.LBB11_53:
	s_or_b32 exec_lo, exec_lo, s7
	v_ashrrev_i32_e32 v1, 31, v0
	v_mul_u32_u24_e32 v3, 0x84, v8
	s_lshl_b64 s[4:5], s[4:5], 2
	s_waitcnt lgkmcnt(0)
	s_waitcnt_vscnt null, 0x0
	s_barrier
	v_cmp_gt_i64_e32 vcc_lo, s[16:17], v[0:1]
	v_add3_u32 v17, v9, s6, v3
	v_add_co_u32 v3, s3, v10, s4
	s_delay_alu instid0(VALU_DEP_1) | instskip(SKIP_3) | instid1(SALU_CYCLE_1)
	v_add_co_ci_u32_e64 v16, s3, s5, v11, s3
	s_xor_b32 s3, s0, -1
	buffer_gl0_inv
	s_and_b32 s5, vcc_lo, s3
	s_and_saveexec_b32 s4, s5
	s_cbranch_execz .LBB11_55
; %bb.54:
	v_mul_lo_u32 v1, v1, s10
	v_mul_lo_u32 v18, v0, s11
	v_mad_u64_u32 v[6:7], null, v0, s10, 0
	ds_load_b32 v19, v17
	v_add3_u32 v7, v7, v18, v1
	s_delay_alu instid0(VALU_DEP_1) | instskip(NEXT) | instid1(VALU_DEP_1)
	v_lshlrev_b64 v[6:7], 2, v[6:7]
	v_add_co_u32 v6, vcc_lo, v3, v6
	s_delay_alu instid0(VALU_DEP_2)
	v_add_co_ci_u32_e32 v7, vcc_lo, v16, v7, vcc_lo
	s_waitcnt lgkmcnt(0)
	global_store_b32 v[6:7], v19, off
.LBB11_55:
	s_or_b32 exec_lo, exec_lo, s4
	v_add_nc_u32_e32 v6, 8, v0
	s_delay_alu instid0(VALU_DEP_1) | instskip(NEXT) | instid1(VALU_DEP_1)
	v_ashrrev_i32_e32 v7, 31, v6
	v_cmp_gt_i64_e32 vcc_lo, s[16:17], v[6:7]
	s_and_b32 s5, vcc_lo, s3
	s_delay_alu instid0(SALU_CYCLE_1)
	s_and_saveexec_b32 s4, s5
	s_cbranch_execz .LBB11_57
; %bb.56:
	v_mul_lo_u32 v1, v7, s10
	v_mul_lo_u32 v7, v6, s11
	v_mad_u64_u32 v[18:19], null, v6, s10, 0
	ds_load_b32 v20, v17 offset:32
	v_add3_u32 v19, v19, v7, v1
	s_delay_alu instid0(VALU_DEP_1) | instskip(NEXT) | instid1(VALU_DEP_1)
	v_lshlrev_b64 v[6:7], 2, v[18:19]
	v_add_co_u32 v6, vcc_lo, v3, v6
	s_delay_alu instid0(VALU_DEP_2)
	v_add_co_ci_u32_e32 v7, vcc_lo, v16, v7, vcc_lo
	s_waitcnt lgkmcnt(0)
	global_store_b32 v[6:7], v20, off
.LBB11_57:
	s_or_b32 exec_lo, exec_lo, s4
	v_add_nc_u32_e32 v6, 16, v0
	s_delay_alu instid0(VALU_DEP_1) | instskip(NEXT) | instid1(VALU_DEP_1)
	v_ashrrev_i32_e32 v7, 31, v6
	v_cmp_gt_i64_e32 vcc_lo, s[16:17], v[6:7]
	s_and_b32 s5, vcc_lo, s3
	s_delay_alu instid0(SALU_CYCLE_1)
	s_and_saveexec_b32 s4, s5
	s_cbranch_execz .LBB11_59
; %bb.58:
	v_mul_lo_u32 v1, v7, s10
	v_mul_lo_u32 v7, v6, s11
	v_mad_u64_u32 v[18:19], null, v6, s10, 0
	ds_load_b32 v20, v17 offset:64
	v_add3_u32 v19, v19, v7, v1
	s_delay_alu instid0(VALU_DEP_1) | instskip(NEXT) | instid1(VALU_DEP_1)
	v_lshlrev_b64 v[6:7], 2, v[18:19]
	v_add_co_u32 v6, vcc_lo, v3, v6
	s_delay_alu instid0(VALU_DEP_2)
	v_add_co_ci_u32_e32 v7, vcc_lo, v16, v7, vcc_lo
	s_waitcnt lgkmcnt(0)
	global_store_b32 v[6:7], v20, off
.LBB11_59:
	;; [unrolled: 23-line block ×3, first 2 shown]
	s_or_b32 exec_lo, exec_lo, s3
	s_xor_b32 s9, s9, 1
.LBB11_62:
	s_delay_alu instid0(VALU_DEP_1)
	s_and_not1_b32 vcc_lo, exec_lo, s2
	s_cbranch_vccnz .LBB11_161
; %bb.63:
	s_or_b32 s4, s8, 3
	s_mov_b32 s5, 0
	s_delay_alu instid0(SALU_CYCLE_1)
	v_cmp_ge_u64_e32 vcc_lo, s[4:5], v[4:5]
	v_cmp_lt_u64_e64 s2, s[4:5], v[4:5]
	s_cbranch_vccnz .LBB11_82
; %bb.64:
	s_mul_i32 s3, s19, s4
	s_mul_hi_u32 s5, s18, s4
	s_mul_i32 s4, s18, s4
	s_add_i32 s5, s5, s3
	s_mul_i32 s6, s9, 0x1080
	s_and_saveexec_b32 s7, s1
	s_cbranch_execz .LBB11_73
; %bb.65:
	s_lshl_b64 s[12:13], s[4:5], 2
	v_ashrrev_i32_e32 v3, 31, v2
	v_add_co_u32 v1, s3, v14, s12
	s_delay_alu instid0(VALU_DEP_1) | instskip(SKIP_1) | instid1(VALU_DEP_3)
	v_add_co_ci_u32_e64 v16, s3, s13, v15, s3
	s_mov_b32 s3, exec_lo
	v_cmpx_gt_i64_e64 s[10:11], v[2:3]
	s_cbranch_execz .LBB11_67
; %bb.66:
	v_mul_lo_u32 v3, v3, s16
	v_mul_lo_u32 v17, v2, s17
	v_mad_u64_u32 v[6:7], null, v2, s16, 0
	s_delay_alu instid0(VALU_DEP_1) | instskip(NEXT) | instid1(VALU_DEP_1)
	v_add3_u32 v7, v7, v17, v3
	v_lshlrev_b64 v[6:7], 2, v[6:7]
	s_delay_alu instid0(VALU_DEP_1) | instskip(NEXT) | instid1(VALU_DEP_2)
	v_add_co_u32 v6, vcc_lo, v1, v6
	v_add_co_ci_u32_e32 v7, vcc_lo, v16, v7, vcc_lo
	global_load_b32 v3, v[6:7], off
	v_mul_u32_u24_e32 v6, 0x84, v13
	s_delay_alu instid0(VALU_DEP_1)
	v_add3_u32 v6, v12, s6, v6
	s_waitcnt vmcnt(0)
	ds_store_b32 v6, v3
.LBB11_67:
	s_or_b32 exec_lo, exec_lo, s3
	v_add_nc_u32_e32 v6, 8, v2
	s_mov_b32 s3, exec_lo
	s_delay_alu instid0(VALU_DEP_1) | instskip(NEXT) | instid1(VALU_DEP_1)
	v_ashrrev_i32_e32 v7, 31, v6
	v_cmpx_gt_i64_e64 s[10:11], v[6:7]
	s_cbranch_execz .LBB11_69
; %bb.68:
	v_mul_lo_u32 v3, v7, s16
	v_mul_lo_u32 v7, v6, s17
	v_mad_u64_u32 v[17:18], null, v6, s16, 0
	s_delay_alu instid0(VALU_DEP_1) | instskip(NEXT) | instid1(VALU_DEP_1)
	v_add3_u32 v18, v18, v7, v3
	v_lshlrev_b64 v[6:7], 2, v[17:18]
	s_delay_alu instid0(VALU_DEP_1) | instskip(NEXT) | instid1(VALU_DEP_2)
	v_add_co_u32 v6, vcc_lo, v1, v6
	v_add_co_ci_u32_e32 v7, vcc_lo, v16, v7, vcc_lo
	global_load_b32 v3, v[6:7], off
	v_mul_u32_u24_e32 v6, 0x84, v13
	s_delay_alu instid0(VALU_DEP_1)
	v_add3_u32 v6, v12, s6, v6
	s_waitcnt vmcnt(0)
	ds_store_b32 v6, v3 offset:1056
.LBB11_69:
	s_or_b32 exec_lo, exec_lo, s3
	v_add_nc_u32_e32 v6, 16, v2
	s_mov_b32 s3, exec_lo
	s_delay_alu instid0(VALU_DEP_1) | instskip(NEXT) | instid1(VALU_DEP_1)
	v_ashrrev_i32_e32 v7, 31, v6
	v_cmpx_gt_i64_e64 s[10:11], v[6:7]
	s_cbranch_execz .LBB11_71
; %bb.70:
	v_mul_lo_u32 v3, v7, s16
	v_mul_lo_u32 v7, v6, s17
	v_mad_u64_u32 v[17:18], null, v6, s16, 0
	s_delay_alu instid0(VALU_DEP_1) | instskip(NEXT) | instid1(VALU_DEP_1)
	v_add3_u32 v18, v18, v7, v3
	v_lshlrev_b64 v[6:7], 2, v[17:18]
	s_delay_alu instid0(VALU_DEP_1) | instskip(NEXT) | instid1(VALU_DEP_2)
	v_add_co_u32 v6, vcc_lo, v1, v6
	v_add_co_ci_u32_e32 v7, vcc_lo, v16, v7, vcc_lo
	global_load_b32 v3, v[6:7], off
	v_mul_u32_u24_e32 v6, 0x84, v13
	s_delay_alu instid0(VALU_DEP_1)
	v_add3_u32 v6, v12, s6, v6
	s_waitcnt vmcnt(0)
	ds_store_b32 v6, v3 offset:2112
.LBB11_71:
	s_or_b32 exec_lo, exec_lo, s3
	v_add_nc_u32_e32 v6, 24, v2
	s_delay_alu instid0(VALU_DEP_1) | instskip(NEXT) | instid1(VALU_DEP_1)
	v_ashrrev_i32_e32 v7, 31, v6
	v_cmp_gt_i64_e32 vcc_lo, s[10:11], v[6:7]
	s_and_b32 exec_lo, exec_lo, vcc_lo
	s_cbranch_execz .LBB11_73
; %bb.72:
	v_mul_lo_u32 v3, v7, s16
	v_mul_lo_u32 v7, v6, s17
	v_mad_u64_u32 v[17:18], null, v6, s16, 0
	s_delay_alu instid0(VALU_DEP_1) | instskip(SKIP_1) | instid1(VALU_DEP_2)
	v_add3_u32 v18, v18, v7, v3
	v_mul_u32_u24_e32 v3, 0x84, v13
	v_lshlrev_b64 v[6:7], 2, v[17:18]
	s_delay_alu instid0(VALU_DEP_2) | instskip(NEXT) | instid1(VALU_DEP_2)
	v_add3_u32 v3, v12, s6, v3
	v_add_co_u32 v6, vcc_lo, v1, v6
	s_delay_alu instid0(VALU_DEP_3)
	v_add_co_ci_u32_e32 v7, vcc_lo, v16, v7, vcc_lo
	global_load_b32 v1, v[6:7], off
	s_waitcnt vmcnt(0)
	ds_store_b32 v3, v1 offset:3168
.LBB11_73:
	s_or_b32 exec_lo, exec_lo, s7
	v_ashrrev_i32_e32 v1, 31, v0
	v_mul_u32_u24_e32 v3, 0x84, v8
	s_lshl_b64 s[4:5], s[4:5], 2
	s_waitcnt lgkmcnt(0)
	s_waitcnt_vscnt null, 0x0
	s_barrier
	v_cmp_gt_i64_e32 vcc_lo, s[16:17], v[0:1]
	v_add3_u32 v17, v9, s6, v3
	v_add_co_u32 v3, s3, v10, s4
	s_delay_alu instid0(VALU_DEP_1) | instskip(SKIP_3) | instid1(SALU_CYCLE_1)
	v_add_co_ci_u32_e64 v16, s3, s5, v11, s3
	s_xor_b32 s3, s0, -1
	buffer_gl0_inv
	s_and_b32 s5, vcc_lo, s3
	s_and_saveexec_b32 s4, s5
	s_cbranch_execz .LBB11_75
; %bb.74:
	v_mul_lo_u32 v1, v1, s10
	v_mul_lo_u32 v18, v0, s11
	v_mad_u64_u32 v[6:7], null, v0, s10, 0
	ds_load_b32 v19, v17
	v_add3_u32 v7, v7, v18, v1
	s_delay_alu instid0(VALU_DEP_1) | instskip(NEXT) | instid1(VALU_DEP_1)
	v_lshlrev_b64 v[6:7], 2, v[6:7]
	v_add_co_u32 v6, vcc_lo, v3, v6
	s_delay_alu instid0(VALU_DEP_2)
	v_add_co_ci_u32_e32 v7, vcc_lo, v16, v7, vcc_lo
	s_waitcnt lgkmcnt(0)
	global_store_b32 v[6:7], v19, off
.LBB11_75:
	s_or_b32 exec_lo, exec_lo, s4
	v_add_nc_u32_e32 v6, 8, v0
	s_delay_alu instid0(VALU_DEP_1) | instskip(NEXT) | instid1(VALU_DEP_1)
	v_ashrrev_i32_e32 v7, 31, v6
	v_cmp_gt_i64_e32 vcc_lo, s[16:17], v[6:7]
	s_and_b32 s5, vcc_lo, s3
	s_delay_alu instid0(SALU_CYCLE_1)
	s_and_saveexec_b32 s4, s5
	s_cbranch_execz .LBB11_77
; %bb.76:
	v_mul_lo_u32 v1, v7, s10
	v_mul_lo_u32 v7, v6, s11
	v_mad_u64_u32 v[18:19], null, v6, s10, 0
	ds_load_b32 v20, v17 offset:32
	v_add3_u32 v19, v19, v7, v1
	s_delay_alu instid0(VALU_DEP_1) | instskip(NEXT) | instid1(VALU_DEP_1)
	v_lshlrev_b64 v[6:7], 2, v[18:19]
	v_add_co_u32 v6, vcc_lo, v3, v6
	s_delay_alu instid0(VALU_DEP_2)
	v_add_co_ci_u32_e32 v7, vcc_lo, v16, v7, vcc_lo
	s_waitcnt lgkmcnt(0)
	global_store_b32 v[6:7], v20, off
.LBB11_77:
	s_or_b32 exec_lo, exec_lo, s4
	v_add_nc_u32_e32 v6, 16, v0
	s_delay_alu instid0(VALU_DEP_1) | instskip(NEXT) | instid1(VALU_DEP_1)
	v_ashrrev_i32_e32 v7, 31, v6
	v_cmp_gt_i64_e32 vcc_lo, s[16:17], v[6:7]
	s_and_b32 s5, vcc_lo, s3
	s_delay_alu instid0(SALU_CYCLE_1)
	s_and_saveexec_b32 s4, s5
	s_cbranch_execz .LBB11_79
; %bb.78:
	v_mul_lo_u32 v1, v7, s10
	v_mul_lo_u32 v7, v6, s11
	v_mad_u64_u32 v[18:19], null, v6, s10, 0
	ds_load_b32 v20, v17 offset:64
	v_add3_u32 v19, v19, v7, v1
	s_delay_alu instid0(VALU_DEP_1) | instskip(NEXT) | instid1(VALU_DEP_1)
	v_lshlrev_b64 v[6:7], 2, v[18:19]
	v_add_co_u32 v6, vcc_lo, v3, v6
	s_delay_alu instid0(VALU_DEP_2)
	v_add_co_ci_u32_e32 v7, vcc_lo, v16, v7, vcc_lo
	s_waitcnt lgkmcnt(0)
	global_store_b32 v[6:7], v20, off
.LBB11_79:
	;; [unrolled: 23-line block ×3, first 2 shown]
	s_or_b32 exec_lo, exec_lo, s3
	s_xor_b32 s9, s9, 1
.LBB11_82:
	s_delay_alu instid0(VALU_DEP_1)
	s_and_not1_b32 vcc_lo, exec_lo, s2
	s_cbranch_vccnz .LBB11_161
; %bb.83:
	s_or_b32 s4, s8, 4
	s_mov_b32 s5, 0
	s_delay_alu instid0(SALU_CYCLE_1)
	v_cmp_ge_u64_e32 vcc_lo, s[4:5], v[4:5]
	v_cmp_lt_u64_e64 s2, s[4:5], v[4:5]
	s_cbranch_vccnz .LBB11_102
; %bb.84:
	s_mul_i32 s3, s19, s4
	s_mul_hi_u32 s5, s18, s4
	s_mul_i32 s4, s18, s4
	s_add_i32 s5, s5, s3
	s_mul_i32 s6, s9, 0x1080
	s_and_saveexec_b32 s7, s1
	s_cbranch_execz .LBB11_93
; %bb.85:
	s_lshl_b64 s[12:13], s[4:5], 2
	v_ashrrev_i32_e32 v3, 31, v2
	v_add_co_u32 v1, s3, v14, s12
	s_delay_alu instid0(VALU_DEP_1) | instskip(SKIP_1) | instid1(VALU_DEP_3)
	v_add_co_ci_u32_e64 v16, s3, s13, v15, s3
	s_mov_b32 s3, exec_lo
	v_cmpx_gt_i64_e64 s[10:11], v[2:3]
	s_cbranch_execz .LBB11_87
; %bb.86:
	v_mul_lo_u32 v3, v3, s16
	v_mul_lo_u32 v17, v2, s17
	v_mad_u64_u32 v[6:7], null, v2, s16, 0
	s_delay_alu instid0(VALU_DEP_1) | instskip(NEXT) | instid1(VALU_DEP_1)
	v_add3_u32 v7, v7, v17, v3
	v_lshlrev_b64 v[6:7], 2, v[6:7]
	s_delay_alu instid0(VALU_DEP_1) | instskip(NEXT) | instid1(VALU_DEP_2)
	v_add_co_u32 v6, vcc_lo, v1, v6
	v_add_co_ci_u32_e32 v7, vcc_lo, v16, v7, vcc_lo
	global_load_b32 v3, v[6:7], off
	v_mul_u32_u24_e32 v6, 0x84, v13
	s_delay_alu instid0(VALU_DEP_1)
	v_add3_u32 v6, v12, s6, v6
	s_waitcnt vmcnt(0)
	ds_store_b32 v6, v3
.LBB11_87:
	s_or_b32 exec_lo, exec_lo, s3
	v_add_nc_u32_e32 v6, 8, v2
	s_mov_b32 s3, exec_lo
	s_delay_alu instid0(VALU_DEP_1) | instskip(NEXT) | instid1(VALU_DEP_1)
	v_ashrrev_i32_e32 v7, 31, v6
	v_cmpx_gt_i64_e64 s[10:11], v[6:7]
	s_cbranch_execz .LBB11_89
; %bb.88:
	v_mul_lo_u32 v3, v7, s16
	v_mul_lo_u32 v7, v6, s17
	v_mad_u64_u32 v[17:18], null, v6, s16, 0
	s_delay_alu instid0(VALU_DEP_1) | instskip(NEXT) | instid1(VALU_DEP_1)
	v_add3_u32 v18, v18, v7, v3
	v_lshlrev_b64 v[6:7], 2, v[17:18]
	s_delay_alu instid0(VALU_DEP_1) | instskip(NEXT) | instid1(VALU_DEP_2)
	v_add_co_u32 v6, vcc_lo, v1, v6
	v_add_co_ci_u32_e32 v7, vcc_lo, v16, v7, vcc_lo
	global_load_b32 v3, v[6:7], off
	v_mul_u32_u24_e32 v6, 0x84, v13
	s_delay_alu instid0(VALU_DEP_1)
	v_add3_u32 v6, v12, s6, v6
	s_waitcnt vmcnt(0)
	ds_store_b32 v6, v3 offset:1056
.LBB11_89:
	s_or_b32 exec_lo, exec_lo, s3
	v_add_nc_u32_e32 v6, 16, v2
	s_mov_b32 s3, exec_lo
	s_delay_alu instid0(VALU_DEP_1) | instskip(NEXT) | instid1(VALU_DEP_1)
	v_ashrrev_i32_e32 v7, 31, v6
	v_cmpx_gt_i64_e64 s[10:11], v[6:7]
	s_cbranch_execz .LBB11_91
; %bb.90:
	v_mul_lo_u32 v3, v7, s16
	v_mul_lo_u32 v7, v6, s17
	v_mad_u64_u32 v[17:18], null, v6, s16, 0
	s_delay_alu instid0(VALU_DEP_1) | instskip(NEXT) | instid1(VALU_DEP_1)
	v_add3_u32 v18, v18, v7, v3
	v_lshlrev_b64 v[6:7], 2, v[17:18]
	s_delay_alu instid0(VALU_DEP_1) | instskip(NEXT) | instid1(VALU_DEP_2)
	v_add_co_u32 v6, vcc_lo, v1, v6
	v_add_co_ci_u32_e32 v7, vcc_lo, v16, v7, vcc_lo
	global_load_b32 v3, v[6:7], off
	v_mul_u32_u24_e32 v6, 0x84, v13
	s_delay_alu instid0(VALU_DEP_1)
	v_add3_u32 v6, v12, s6, v6
	s_waitcnt vmcnt(0)
	ds_store_b32 v6, v3 offset:2112
.LBB11_91:
	s_or_b32 exec_lo, exec_lo, s3
	v_add_nc_u32_e32 v6, 24, v2
	s_delay_alu instid0(VALU_DEP_1) | instskip(NEXT) | instid1(VALU_DEP_1)
	v_ashrrev_i32_e32 v7, 31, v6
	v_cmp_gt_i64_e32 vcc_lo, s[10:11], v[6:7]
	s_and_b32 exec_lo, exec_lo, vcc_lo
	s_cbranch_execz .LBB11_93
; %bb.92:
	v_mul_lo_u32 v3, v7, s16
	v_mul_lo_u32 v7, v6, s17
	v_mad_u64_u32 v[17:18], null, v6, s16, 0
	s_delay_alu instid0(VALU_DEP_1) | instskip(SKIP_1) | instid1(VALU_DEP_2)
	v_add3_u32 v18, v18, v7, v3
	v_mul_u32_u24_e32 v3, 0x84, v13
	v_lshlrev_b64 v[6:7], 2, v[17:18]
	s_delay_alu instid0(VALU_DEP_2) | instskip(NEXT) | instid1(VALU_DEP_2)
	v_add3_u32 v3, v12, s6, v3
	v_add_co_u32 v6, vcc_lo, v1, v6
	s_delay_alu instid0(VALU_DEP_3)
	v_add_co_ci_u32_e32 v7, vcc_lo, v16, v7, vcc_lo
	global_load_b32 v1, v[6:7], off
	s_waitcnt vmcnt(0)
	ds_store_b32 v3, v1 offset:3168
.LBB11_93:
	s_or_b32 exec_lo, exec_lo, s7
	v_ashrrev_i32_e32 v1, 31, v0
	v_mul_u32_u24_e32 v3, 0x84, v8
	s_lshl_b64 s[4:5], s[4:5], 2
	s_waitcnt lgkmcnt(0)
	s_waitcnt_vscnt null, 0x0
	s_barrier
	v_cmp_gt_i64_e32 vcc_lo, s[16:17], v[0:1]
	v_add3_u32 v17, v9, s6, v3
	v_add_co_u32 v3, s3, v10, s4
	s_delay_alu instid0(VALU_DEP_1) | instskip(SKIP_3) | instid1(SALU_CYCLE_1)
	v_add_co_ci_u32_e64 v16, s3, s5, v11, s3
	s_xor_b32 s3, s0, -1
	buffer_gl0_inv
	s_and_b32 s5, vcc_lo, s3
	s_and_saveexec_b32 s4, s5
	s_cbranch_execz .LBB11_95
; %bb.94:
	v_mul_lo_u32 v1, v1, s10
	v_mul_lo_u32 v18, v0, s11
	v_mad_u64_u32 v[6:7], null, v0, s10, 0
	ds_load_b32 v19, v17
	v_add3_u32 v7, v7, v18, v1
	s_delay_alu instid0(VALU_DEP_1) | instskip(NEXT) | instid1(VALU_DEP_1)
	v_lshlrev_b64 v[6:7], 2, v[6:7]
	v_add_co_u32 v6, vcc_lo, v3, v6
	s_delay_alu instid0(VALU_DEP_2)
	v_add_co_ci_u32_e32 v7, vcc_lo, v16, v7, vcc_lo
	s_waitcnt lgkmcnt(0)
	global_store_b32 v[6:7], v19, off
.LBB11_95:
	s_or_b32 exec_lo, exec_lo, s4
	v_add_nc_u32_e32 v6, 8, v0
	s_delay_alu instid0(VALU_DEP_1) | instskip(NEXT) | instid1(VALU_DEP_1)
	v_ashrrev_i32_e32 v7, 31, v6
	v_cmp_gt_i64_e32 vcc_lo, s[16:17], v[6:7]
	s_and_b32 s5, vcc_lo, s3
	s_delay_alu instid0(SALU_CYCLE_1)
	s_and_saveexec_b32 s4, s5
	s_cbranch_execz .LBB11_97
; %bb.96:
	v_mul_lo_u32 v1, v7, s10
	v_mul_lo_u32 v7, v6, s11
	v_mad_u64_u32 v[18:19], null, v6, s10, 0
	ds_load_b32 v20, v17 offset:32
	v_add3_u32 v19, v19, v7, v1
	s_delay_alu instid0(VALU_DEP_1) | instskip(NEXT) | instid1(VALU_DEP_1)
	v_lshlrev_b64 v[6:7], 2, v[18:19]
	v_add_co_u32 v6, vcc_lo, v3, v6
	s_delay_alu instid0(VALU_DEP_2)
	v_add_co_ci_u32_e32 v7, vcc_lo, v16, v7, vcc_lo
	s_waitcnt lgkmcnt(0)
	global_store_b32 v[6:7], v20, off
.LBB11_97:
	s_or_b32 exec_lo, exec_lo, s4
	v_add_nc_u32_e32 v6, 16, v0
	s_delay_alu instid0(VALU_DEP_1) | instskip(NEXT) | instid1(VALU_DEP_1)
	v_ashrrev_i32_e32 v7, 31, v6
	v_cmp_gt_i64_e32 vcc_lo, s[16:17], v[6:7]
	s_and_b32 s5, vcc_lo, s3
	s_delay_alu instid0(SALU_CYCLE_1)
	s_and_saveexec_b32 s4, s5
	s_cbranch_execz .LBB11_99
; %bb.98:
	v_mul_lo_u32 v1, v7, s10
	v_mul_lo_u32 v7, v6, s11
	v_mad_u64_u32 v[18:19], null, v6, s10, 0
	ds_load_b32 v20, v17 offset:64
	v_add3_u32 v19, v19, v7, v1
	s_delay_alu instid0(VALU_DEP_1) | instskip(NEXT) | instid1(VALU_DEP_1)
	v_lshlrev_b64 v[6:7], 2, v[18:19]
	v_add_co_u32 v6, vcc_lo, v3, v6
	s_delay_alu instid0(VALU_DEP_2)
	v_add_co_ci_u32_e32 v7, vcc_lo, v16, v7, vcc_lo
	s_waitcnt lgkmcnt(0)
	global_store_b32 v[6:7], v20, off
.LBB11_99:
	;; [unrolled: 23-line block ×3, first 2 shown]
	s_or_b32 exec_lo, exec_lo, s3
	s_xor_b32 s9, s9, 1
.LBB11_102:
	s_delay_alu instid0(VALU_DEP_1)
	s_and_not1_b32 vcc_lo, exec_lo, s2
	s_cbranch_vccnz .LBB11_161
; %bb.103:
	s_or_b32 s4, s8, 5
	s_mov_b32 s5, 0
	s_delay_alu instid0(SALU_CYCLE_1)
	v_cmp_ge_u64_e32 vcc_lo, s[4:5], v[4:5]
	v_cmp_lt_u64_e64 s2, s[4:5], v[4:5]
	s_cbranch_vccnz .LBB11_122
; %bb.104:
	s_mul_i32 s3, s19, s4
	s_mul_hi_u32 s5, s18, s4
	s_mul_i32 s4, s18, s4
	s_add_i32 s5, s5, s3
	s_mul_i32 s6, s9, 0x1080
	s_and_saveexec_b32 s7, s1
	s_cbranch_execz .LBB11_113
; %bb.105:
	s_lshl_b64 s[12:13], s[4:5], 2
	v_ashrrev_i32_e32 v3, 31, v2
	v_add_co_u32 v1, s3, v14, s12
	s_delay_alu instid0(VALU_DEP_1) | instskip(SKIP_1) | instid1(VALU_DEP_3)
	v_add_co_ci_u32_e64 v16, s3, s13, v15, s3
	s_mov_b32 s3, exec_lo
	v_cmpx_gt_i64_e64 s[10:11], v[2:3]
	s_cbranch_execz .LBB11_107
; %bb.106:
	v_mul_lo_u32 v3, v3, s16
	v_mul_lo_u32 v17, v2, s17
	v_mad_u64_u32 v[6:7], null, v2, s16, 0
	s_delay_alu instid0(VALU_DEP_1) | instskip(NEXT) | instid1(VALU_DEP_1)
	v_add3_u32 v7, v7, v17, v3
	v_lshlrev_b64 v[6:7], 2, v[6:7]
	s_delay_alu instid0(VALU_DEP_1) | instskip(NEXT) | instid1(VALU_DEP_2)
	v_add_co_u32 v6, vcc_lo, v1, v6
	v_add_co_ci_u32_e32 v7, vcc_lo, v16, v7, vcc_lo
	global_load_b32 v3, v[6:7], off
	v_mul_u32_u24_e32 v6, 0x84, v13
	s_delay_alu instid0(VALU_DEP_1)
	v_add3_u32 v6, v12, s6, v6
	s_waitcnt vmcnt(0)
	ds_store_b32 v6, v3
.LBB11_107:
	s_or_b32 exec_lo, exec_lo, s3
	v_add_nc_u32_e32 v6, 8, v2
	s_mov_b32 s3, exec_lo
	s_delay_alu instid0(VALU_DEP_1) | instskip(NEXT) | instid1(VALU_DEP_1)
	v_ashrrev_i32_e32 v7, 31, v6
	v_cmpx_gt_i64_e64 s[10:11], v[6:7]
	s_cbranch_execz .LBB11_109
; %bb.108:
	v_mul_lo_u32 v3, v7, s16
	v_mul_lo_u32 v7, v6, s17
	v_mad_u64_u32 v[17:18], null, v6, s16, 0
	s_delay_alu instid0(VALU_DEP_1) | instskip(NEXT) | instid1(VALU_DEP_1)
	v_add3_u32 v18, v18, v7, v3
	v_lshlrev_b64 v[6:7], 2, v[17:18]
	s_delay_alu instid0(VALU_DEP_1) | instskip(NEXT) | instid1(VALU_DEP_2)
	v_add_co_u32 v6, vcc_lo, v1, v6
	v_add_co_ci_u32_e32 v7, vcc_lo, v16, v7, vcc_lo
	global_load_b32 v3, v[6:7], off
	v_mul_u32_u24_e32 v6, 0x84, v13
	s_delay_alu instid0(VALU_DEP_1)
	v_add3_u32 v6, v12, s6, v6
	s_waitcnt vmcnt(0)
	ds_store_b32 v6, v3 offset:1056
.LBB11_109:
	s_or_b32 exec_lo, exec_lo, s3
	v_add_nc_u32_e32 v6, 16, v2
	s_mov_b32 s3, exec_lo
	s_delay_alu instid0(VALU_DEP_1) | instskip(NEXT) | instid1(VALU_DEP_1)
	v_ashrrev_i32_e32 v7, 31, v6
	v_cmpx_gt_i64_e64 s[10:11], v[6:7]
	s_cbranch_execz .LBB11_111
; %bb.110:
	v_mul_lo_u32 v3, v7, s16
	v_mul_lo_u32 v7, v6, s17
	v_mad_u64_u32 v[17:18], null, v6, s16, 0
	s_delay_alu instid0(VALU_DEP_1) | instskip(NEXT) | instid1(VALU_DEP_1)
	v_add3_u32 v18, v18, v7, v3
	v_lshlrev_b64 v[6:7], 2, v[17:18]
	s_delay_alu instid0(VALU_DEP_1) | instskip(NEXT) | instid1(VALU_DEP_2)
	v_add_co_u32 v6, vcc_lo, v1, v6
	v_add_co_ci_u32_e32 v7, vcc_lo, v16, v7, vcc_lo
	global_load_b32 v3, v[6:7], off
	v_mul_u32_u24_e32 v6, 0x84, v13
	s_delay_alu instid0(VALU_DEP_1)
	v_add3_u32 v6, v12, s6, v6
	s_waitcnt vmcnt(0)
	ds_store_b32 v6, v3 offset:2112
.LBB11_111:
	s_or_b32 exec_lo, exec_lo, s3
	v_add_nc_u32_e32 v6, 24, v2
	s_delay_alu instid0(VALU_DEP_1) | instskip(NEXT) | instid1(VALU_DEP_1)
	v_ashrrev_i32_e32 v7, 31, v6
	v_cmp_gt_i64_e32 vcc_lo, s[10:11], v[6:7]
	s_and_b32 exec_lo, exec_lo, vcc_lo
	s_cbranch_execz .LBB11_113
; %bb.112:
	v_mul_lo_u32 v3, v7, s16
	v_mul_lo_u32 v7, v6, s17
	v_mad_u64_u32 v[17:18], null, v6, s16, 0
	s_delay_alu instid0(VALU_DEP_1) | instskip(SKIP_1) | instid1(VALU_DEP_2)
	v_add3_u32 v18, v18, v7, v3
	v_mul_u32_u24_e32 v3, 0x84, v13
	v_lshlrev_b64 v[6:7], 2, v[17:18]
	s_delay_alu instid0(VALU_DEP_2) | instskip(NEXT) | instid1(VALU_DEP_2)
	v_add3_u32 v3, v12, s6, v3
	v_add_co_u32 v6, vcc_lo, v1, v6
	s_delay_alu instid0(VALU_DEP_3)
	v_add_co_ci_u32_e32 v7, vcc_lo, v16, v7, vcc_lo
	global_load_b32 v1, v[6:7], off
	s_waitcnt vmcnt(0)
	ds_store_b32 v3, v1 offset:3168
.LBB11_113:
	s_or_b32 exec_lo, exec_lo, s7
	v_ashrrev_i32_e32 v1, 31, v0
	v_mul_u32_u24_e32 v3, 0x84, v8
	s_lshl_b64 s[4:5], s[4:5], 2
	s_waitcnt lgkmcnt(0)
	s_waitcnt_vscnt null, 0x0
	s_barrier
	v_cmp_gt_i64_e32 vcc_lo, s[16:17], v[0:1]
	v_add3_u32 v17, v9, s6, v3
	v_add_co_u32 v3, s3, v10, s4
	s_delay_alu instid0(VALU_DEP_1) | instskip(SKIP_3) | instid1(SALU_CYCLE_1)
	v_add_co_ci_u32_e64 v16, s3, s5, v11, s3
	s_xor_b32 s3, s0, -1
	buffer_gl0_inv
	s_and_b32 s5, vcc_lo, s3
	s_and_saveexec_b32 s4, s5
	s_cbranch_execz .LBB11_115
; %bb.114:
	v_mul_lo_u32 v1, v1, s10
	v_mul_lo_u32 v18, v0, s11
	v_mad_u64_u32 v[6:7], null, v0, s10, 0
	ds_load_b32 v19, v17
	v_add3_u32 v7, v7, v18, v1
	s_delay_alu instid0(VALU_DEP_1) | instskip(NEXT) | instid1(VALU_DEP_1)
	v_lshlrev_b64 v[6:7], 2, v[6:7]
	v_add_co_u32 v6, vcc_lo, v3, v6
	s_delay_alu instid0(VALU_DEP_2)
	v_add_co_ci_u32_e32 v7, vcc_lo, v16, v7, vcc_lo
	s_waitcnt lgkmcnt(0)
	global_store_b32 v[6:7], v19, off
.LBB11_115:
	s_or_b32 exec_lo, exec_lo, s4
	v_add_nc_u32_e32 v6, 8, v0
	s_delay_alu instid0(VALU_DEP_1) | instskip(NEXT) | instid1(VALU_DEP_1)
	v_ashrrev_i32_e32 v7, 31, v6
	v_cmp_gt_i64_e32 vcc_lo, s[16:17], v[6:7]
	s_and_b32 s5, vcc_lo, s3
	s_delay_alu instid0(SALU_CYCLE_1)
	s_and_saveexec_b32 s4, s5
	s_cbranch_execz .LBB11_117
; %bb.116:
	v_mul_lo_u32 v1, v7, s10
	v_mul_lo_u32 v7, v6, s11
	v_mad_u64_u32 v[18:19], null, v6, s10, 0
	ds_load_b32 v20, v17 offset:32
	v_add3_u32 v19, v19, v7, v1
	s_delay_alu instid0(VALU_DEP_1) | instskip(NEXT) | instid1(VALU_DEP_1)
	v_lshlrev_b64 v[6:7], 2, v[18:19]
	v_add_co_u32 v6, vcc_lo, v3, v6
	s_delay_alu instid0(VALU_DEP_2)
	v_add_co_ci_u32_e32 v7, vcc_lo, v16, v7, vcc_lo
	s_waitcnt lgkmcnt(0)
	global_store_b32 v[6:7], v20, off
.LBB11_117:
	s_or_b32 exec_lo, exec_lo, s4
	v_add_nc_u32_e32 v6, 16, v0
	s_delay_alu instid0(VALU_DEP_1) | instskip(NEXT) | instid1(VALU_DEP_1)
	v_ashrrev_i32_e32 v7, 31, v6
	v_cmp_gt_i64_e32 vcc_lo, s[16:17], v[6:7]
	s_and_b32 s5, vcc_lo, s3
	s_delay_alu instid0(SALU_CYCLE_1)
	s_and_saveexec_b32 s4, s5
	s_cbranch_execz .LBB11_119
; %bb.118:
	v_mul_lo_u32 v1, v7, s10
	v_mul_lo_u32 v7, v6, s11
	v_mad_u64_u32 v[18:19], null, v6, s10, 0
	ds_load_b32 v20, v17 offset:64
	v_add3_u32 v19, v19, v7, v1
	s_delay_alu instid0(VALU_DEP_1) | instskip(NEXT) | instid1(VALU_DEP_1)
	v_lshlrev_b64 v[6:7], 2, v[18:19]
	v_add_co_u32 v6, vcc_lo, v3, v6
	s_delay_alu instid0(VALU_DEP_2)
	v_add_co_ci_u32_e32 v7, vcc_lo, v16, v7, vcc_lo
	s_waitcnt lgkmcnt(0)
	global_store_b32 v[6:7], v20, off
.LBB11_119:
	;; [unrolled: 23-line block ×3, first 2 shown]
	s_or_b32 exec_lo, exec_lo, s3
	s_xor_b32 s9, s9, 1
.LBB11_122:
	s_delay_alu instid0(VALU_DEP_1)
	s_and_not1_b32 vcc_lo, exec_lo, s2
	s_cbranch_vccnz .LBB11_161
; %bb.123:
	s_or_b32 s4, s8, 6
	s_mov_b32 s5, 0
	s_delay_alu instid0(SALU_CYCLE_1)
	v_cmp_ge_u64_e32 vcc_lo, s[4:5], v[4:5]
	v_cmp_lt_u64_e64 s2, s[4:5], v[4:5]
	s_cbranch_vccnz .LBB11_142
; %bb.124:
	s_mul_i32 s3, s19, s4
	s_mul_hi_u32 s5, s18, s4
	s_mul_i32 s4, s18, s4
	s_add_i32 s5, s5, s3
	s_mul_i32 s6, s9, 0x1080
	s_and_saveexec_b32 s7, s1
	s_cbranch_execz .LBB11_133
; %bb.125:
	s_lshl_b64 s[12:13], s[4:5], 2
	v_ashrrev_i32_e32 v3, 31, v2
	v_add_co_u32 v1, s3, v14, s12
	s_delay_alu instid0(VALU_DEP_1) | instskip(SKIP_1) | instid1(VALU_DEP_3)
	v_add_co_ci_u32_e64 v16, s3, s13, v15, s3
	s_mov_b32 s3, exec_lo
	v_cmpx_gt_i64_e64 s[10:11], v[2:3]
	s_cbranch_execz .LBB11_127
; %bb.126:
	v_mul_lo_u32 v3, v3, s16
	v_mul_lo_u32 v17, v2, s17
	v_mad_u64_u32 v[6:7], null, v2, s16, 0
	s_delay_alu instid0(VALU_DEP_1) | instskip(NEXT) | instid1(VALU_DEP_1)
	v_add3_u32 v7, v7, v17, v3
	v_lshlrev_b64 v[6:7], 2, v[6:7]
	s_delay_alu instid0(VALU_DEP_1) | instskip(NEXT) | instid1(VALU_DEP_2)
	v_add_co_u32 v6, vcc_lo, v1, v6
	v_add_co_ci_u32_e32 v7, vcc_lo, v16, v7, vcc_lo
	global_load_b32 v3, v[6:7], off
	v_mul_u32_u24_e32 v6, 0x84, v13
	s_delay_alu instid0(VALU_DEP_1)
	v_add3_u32 v6, v12, s6, v6
	s_waitcnt vmcnt(0)
	ds_store_b32 v6, v3
.LBB11_127:
	s_or_b32 exec_lo, exec_lo, s3
	v_add_nc_u32_e32 v6, 8, v2
	s_mov_b32 s3, exec_lo
	s_delay_alu instid0(VALU_DEP_1) | instskip(NEXT) | instid1(VALU_DEP_1)
	v_ashrrev_i32_e32 v7, 31, v6
	v_cmpx_gt_i64_e64 s[10:11], v[6:7]
	s_cbranch_execz .LBB11_129
; %bb.128:
	v_mul_lo_u32 v3, v7, s16
	v_mul_lo_u32 v7, v6, s17
	v_mad_u64_u32 v[17:18], null, v6, s16, 0
	s_delay_alu instid0(VALU_DEP_1) | instskip(NEXT) | instid1(VALU_DEP_1)
	v_add3_u32 v18, v18, v7, v3
	v_lshlrev_b64 v[6:7], 2, v[17:18]
	s_delay_alu instid0(VALU_DEP_1) | instskip(NEXT) | instid1(VALU_DEP_2)
	v_add_co_u32 v6, vcc_lo, v1, v6
	v_add_co_ci_u32_e32 v7, vcc_lo, v16, v7, vcc_lo
	global_load_b32 v3, v[6:7], off
	v_mul_u32_u24_e32 v6, 0x84, v13
	s_delay_alu instid0(VALU_DEP_1)
	v_add3_u32 v6, v12, s6, v6
	s_waitcnt vmcnt(0)
	ds_store_b32 v6, v3 offset:1056
.LBB11_129:
	s_or_b32 exec_lo, exec_lo, s3
	v_add_nc_u32_e32 v6, 16, v2
	s_mov_b32 s3, exec_lo
	s_delay_alu instid0(VALU_DEP_1) | instskip(NEXT) | instid1(VALU_DEP_1)
	v_ashrrev_i32_e32 v7, 31, v6
	v_cmpx_gt_i64_e64 s[10:11], v[6:7]
	s_cbranch_execz .LBB11_131
; %bb.130:
	v_mul_lo_u32 v3, v7, s16
	v_mul_lo_u32 v7, v6, s17
	v_mad_u64_u32 v[17:18], null, v6, s16, 0
	s_delay_alu instid0(VALU_DEP_1) | instskip(NEXT) | instid1(VALU_DEP_1)
	v_add3_u32 v18, v18, v7, v3
	v_lshlrev_b64 v[6:7], 2, v[17:18]
	s_delay_alu instid0(VALU_DEP_1) | instskip(NEXT) | instid1(VALU_DEP_2)
	v_add_co_u32 v6, vcc_lo, v1, v6
	v_add_co_ci_u32_e32 v7, vcc_lo, v16, v7, vcc_lo
	global_load_b32 v3, v[6:7], off
	v_mul_u32_u24_e32 v6, 0x84, v13
	s_delay_alu instid0(VALU_DEP_1)
	v_add3_u32 v6, v12, s6, v6
	s_waitcnt vmcnt(0)
	ds_store_b32 v6, v3 offset:2112
.LBB11_131:
	s_or_b32 exec_lo, exec_lo, s3
	v_add_nc_u32_e32 v6, 24, v2
	s_delay_alu instid0(VALU_DEP_1) | instskip(NEXT) | instid1(VALU_DEP_1)
	v_ashrrev_i32_e32 v7, 31, v6
	v_cmp_gt_i64_e32 vcc_lo, s[10:11], v[6:7]
	s_and_b32 exec_lo, exec_lo, vcc_lo
	s_cbranch_execz .LBB11_133
; %bb.132:
	v_mul_lo_u32 v3, v7, s16
	v_mul_lo_u32 v7, v6, s17
	v_mad_u64_u32 v[17:18], null, v6, s16, 0
	s_delay_alu instid0(VALU_DEP_1) | instskip(SKIP_1) | instid1(VALU_DEP_2)
	v_add3_u32 v18, v18, v7, v3
	v_mul_u32_u24_e32 v3, 0x84, v13
	v_lshlrev_b64 v[6:7], 2, v[17:18]
	s_delay_alu instid0(VALU_DEP_2) | instskip(NEXT) | instid1(VALU_DEP_2)
	v_add3_u32 v3, v12, s6, v3
	v_add_co_u32 v6, vcc_lo, v1, v6
	s_delay_alu instid0(VALU_DEP_3)
	v_add_co_ci_u32_e32 v7, vcc_lo, v16, v7, vcc_lo
	global_load_b32 v1, v[6:7], off
	s_waitcnt vmcnt(0)
	ds_store_b32 v3, v1 offset:3168
.LBB11_133:
	s_or_b32 exec_lo, exec_lo, s7
	v_ashrrev_i32_e32 v1, 31, v0
	v_mul_u32_u24_e32 v3, 0x84, v8
	s_lshl_b64 s[4:5], s[4:5], 2
	s_waitcnt lgkmcnt(0)
	s_waitcnt_vscnt null, 0x0
	s_barrier
	v_cmp_gt_i64_e32 vcc_lo, s[16:17], v[0:1]
	v_add3_u32 v17, v9, s6, v3
	v_add_co_u32 v3, s3, v10, s4
	s_delay_alu instid0(VALU_DEP_1) | instskip(SKIP_3) | instid1(SALU_CYCLE_1)
	v_add_co_ci_u32_e64 v16, s3, s5, v11, s3
	s_xor_b32 s3, s0, -1
	buffer_gl0_inv
	s_and_b32 s5, vcc_lo, s3
	s_and_saveexec_b32 s4, s5
	s_cbranch_execz .LBB11_135
; %bb.134:
	v_mul_lo_u32 v1, v1, s10
	v_mul_lo_u32 v18, v0, s11
	v_mad_u64_u32 v[6:7], null, v0, s10, 0
	ds_load_b32 v19, v17
	v_add3_u32 v7, v7, v18, v1
	s_delay_alu instid0(VALU_DEP_1) | instskip(NEXT) | instid1(VALU_DEP_1)
	v_lshlrev_b64 v[6:7], 2, v[6:7]
	v_add_co_u32 v6, vcc_lo, v3, v6
	s_delay_alu instid0(VALU_DEP_2)
	v_add_co_ci_u32_e32 v7, vcc_lo, v16, v7, vcc_lo
	s_waitcnt lgkmcnt(0)
	global_store_b32 v[6:7], v19, off
.LBB11_135:
	s_or_b32 exec_lo, exec_lo, s4
	v_add_nc_u32_e32 v6, 8, v0
	s_delay_alu instid0(VALU_DEP_1) | instskip(NEXT) | instid1(VALU_DEP_1)
	v_ashrrev_i32_e32 v7, 31, v6
	v_cmp_gt_i64_e32 vcc_lo, s[16:17], v[6:7]
	s_and_b32 s5, vcc_lo, s3
	s_delay_alu instid0(SALU_CYCLE_1)
	s_and_saveexec_b32 s4, s5
	s_cbranch_execz .LBB11_137
; %bb.136:
	v_mul_lo_u32 v1, v7, s10
	v_mul_lo_u32 v7, v6, s11
	v_mad_u64_u32 v[18:19], null, v6, s10, 0
	ds_load_b32 v20, v17 offset:32
	v_add3_u32 v19, v19, v7, v1
	s_delay_alu instid0(VALU_DEP_1) | instskip(NEXT) | instid1(VALU_DEP_1)
	v_lshlrev_b64 v[6:7], 2, v[18:19]
	v_add_co_u32 v6, vcc_lo, v3, v6
	s_delay_alu instid0(VALU_DEP_2)
	v_add_co_ci_u32_e32 v7, vcc_lo, v16, v7, vcc_lo
	s_waitcnt lgkmcnt(0)
	global_store_b32 v[6:7], v20, off
.LBB11_137:
	s_or_b32 exec_lo, exec_lo, s4
	v_add_nc_u32_e32 v6, 16, v0
	s_delay_alu instid0(VALU_DEP_1) | instskip(NEXT) | instid1(VALU_DEP_1)
	v_ashrrev_i32_e32 v7, 31, v6
	v_cmp_gt_i64_e32 vcc_lo, s[16:17], v[6:7]
	s_and_b32 s5, vcc_lo, s3
	s_delay_alu instid0(SALU_CYCLE_1)
	s_and_saveexec_b32 s4, s5
	s_cbranch_execz .LBB11_139
; %bb.138:
	v_mul_lo_u32 v1, v7, s10
	v_mul_lo_u32 v7, v6, s11
	v_mad_u64_u32 v[18:19], null, v6, s10, 0
	ds_load_b32 v20, v17 offset:64
	v_add3_u32 v19, v19, v7, v1
	s_delay_alu instid0(VALU_DEP_1) | instskip(NEXT) | instid1(VALU_DEP_1)
	v_lshlrev_b64 v[6:7], 2, v[18:19]
	v_add_co_u32 v6, vcc_lo, v3, v6
	s_delay_alu instid0(VALU_DEP_2)
	v_add_co_ci_u32_e32 v7, vcc_lo, v16, v7, vcc_lo
	s_waitcnt lgkmcnt(0)
	global_store_b32 v[6:7], v20, off
.LBB11_139:
	;; [unrolled: 23-line block ×3, first 2 shown]
	s_or_b32 exec_lo, exec_lo, s3
	s_xor_b32 s9, s9, 1
.LBB11_142:
	s_delay_alu instid0(VALU_DEP_1)
	s_and_not1_b32 vcc_lo, exec_lo, s2
	s_cbranch_vccnz .LBB11_161
; %bb.143:
	s_or_b32 s2, s8, 7
	s_mov_b32 s3, 0
	s_delay_alu instid0(SALU_CYCLE_1)
	v_cmp_ge_u64_e32 vcc_lo, s[2:3], v[4:5]
	s_cbranch_vccnz .LBB11_161
; %bb.144:
	s_mul_i32 s3, s19, s2
	s_mul_hi_u32 s4, s18, s2
	s_mul_i32 s2, s18, s2
	s_add_i32 s3, s4, s3
	s_mul_i32 s4, s9, 0x1080
	s_and_saveexec_b32 s5, s1
	s_cbranch_execz .LBB11_153
; %bb.145:
	s_lshl_b64 s[6:7], s[2:3], 2
	v_ashrrev_i32_e32 v3, 31, v2
	v_add_co_u32 v5, vcc_lo, v14, s6
	v_add_co_ci_u32_e32 v6, vcc_lo, s7, v15, vcc_lo
	v_mul_u32_u24_e32 v7, 0x84, v13
	s_mov_b32 s1, exec_lo
	v_cmpx_gt_i64_e64 s[10:11], v[2:3]
	s_cbranch_execz .LBB11_147
; %bb.146:
	v_mul_lo_u32 v1, v3, s16
	v_mul_lo_u32 v13, v2, s17
	v_mad_u64_u32 v[3:4], null, v2, s16, 0
	s_delay_alu instid0(VALU_DEP_1) | instskip(NEXT) | instid1(VALU_DEP_1)
	v_add3_u32 v4, v4, v13, v1
	v_lshlrev_b64 v[3:4], 2, v[3:4]
	s_delay_alu instid0(VALU_DEP_1) | instskip(NEXT) | instid1(VALU_DEP_2)
	v_add_co_u32 v3, vcc_lo, v5, v3
	v_add_co_ci_u32_e32 v4, vcc_lo, v6, v4, vcc_lo
	global_load_b32 v1, v[3:4], off
	v_add3_u32 v3, v12, s4, v7
	s_waitcnt vmcnt(0)
	ds_store_b32 v3, v1
.LBB11_147:
	s_or_b32 exec_lo, exec_lo, s1
	v_add_nc_u32_e32 v3, 8, v2
	s_mov_b32 s1, exec_lo
	s_delay_alu instid0(VALU_DEP_1) | instskip(NEXT) | instid1(VALU_DEP_1)
	v_ashrrev_i32_e32 v4, 31, v3
	v_cmpx_gt_i64_e64 s[10:11], v[3:4]
	s_cbranch_execz .LBB11_149
; %bb.148:
	v_mul_lo_u32 v1, v4, s16
	v_mul_lo_u32 v4, v3, s17
	v_mad_u64_u32 v[13:14], null, v3, s16, 0
	s_delay_alu instid0(VALU_DEP_1) | instskip(NEXT) | instid1(VALU_DEP_1)
	v_add3_u32 v14, v14, v4, v1
	v_lshlrev_b64 v[3:4], 2, v[13:14]
	s_delay_alu instid0(VALU_DEP_1) | instskip(NEXT) | instid1(VALU_DEP_2)
	v_add_co_u32 v3, vcc_lo, v5, v3
	v_add_co_ci_u32_e32 v4, vcc_lo, v6, v4, vcc_lo
	global_load_b32 v1, v[3:4], off
	v_add3_u32 v3, v12, s4, v7
	s_waitcnt vmcnt(0)
	ds_store_b32 v3, v1 offset:1056
.LBB11_149:
	s_or_b32 exec_lo, exec_lo, s1
	v_add_nc_u32_e32 v3, 16, v2
	s_mov_b32 s1, exec_lo
	s_delay_alu instid0(VALU_DEP_1) | instskip(NEXT) | instid1(VALU_DEP_1)
	v_ashrrev_i32_e32 v4, 31, v3
	v_cmpx_gt_i64_e64 s[10:11], v[3:4]
	s_cbranch_execz .LBB11_151
; %bb.150:
	v_mul_lo_u32 v1, v4, s16
	v_mul_lo_u32 v4, v3, s17
	v_mad_u64_u32 v[13:14], null, v3, s16, 0
	s_delay_alu instid0(VALU_DEP_1) | instskip(NEXT) | instid1(VALU_DEP_1)
	v_add3_u32 v14, v14, v4, v1
	v_lshlrev_b64 v[3:4], 2, v[13:14]
	s_delay_alu instid0(VALU_DEP_1) | instskip(NEXT) | instid1(VALU_DEP_2)
	v_add_co_u32 v3, vcc_lo, v5, v3
	v_add_co_ci_u32_e32 v4, vcc_lo, v6, v4, vcc_lo
	global_load_b32 v1, v[3:4], off
	v_add3_u32 v3, v12, s4, v7
	s_waitcnt vmcnt(0)
	ds_store_b32 v3, v1 offset:2112
.LBB11_151:
	s_or_b32 exec_lo, exec_lo, s1
	v_add_nc_u32_e32 v1, 24, v2
	s_delay_alu instid0(VALU_DEP_1) | instskip(NEXT) | instid1(VALU_DEP_1)
	v_ashrrev_i32_e32 v2, 31, v1
	v_cmp_gt_i64_e32 vcc_lo, s[10:11], v[1:2]
	s_and_b32 exec_lo, exec_lo, vcc_lo
	s_cbranch_execz .LBB11_153
; %bb.152:
	v_mul_lo_u32 v4, v2, s16
	v_mul_lo_u32 v13, v1, s17
	v_mad_u64_u32 v[2:3], null, v1, s16, 0
	s_delay_alu instid0(VALU_DEP_1) | instskip(NEXT) | instid1(VALU_DEP_1)
	v_add3_u32 v3, v3, v13, v4
	v_lshlrev_b64 v[1:2], 2, v[2:3]
	s_delay_alu instid0(VALU_DEP_1) | instskip(NEXT) | instid1(VALU_DEP_2)
	v_add_co_u32 v1, vcc_lo, v5, v1
	v_add_co_ci_u32_e32 v2, vcc_lo, v6, v2, vcc_lo
	global_load_b32 v1, v[1:2], off
	v_add3_u32 v2, v12, s4, v7
	s_waitcnt vmcnt(0)
	ds_store_b32 v2, v1 offset:3168
.LBB11_153:
	s_or_b32 exec_lo, exec_lo, s5
	v_ashrrev_i32_e32 v1, 31, v0
	v_mul_u32_u24_e32 v2, 0x84, v8
	s_lshl_b64 s[2:3], s[2:3], 2
	s_xor_b32 s0, s0, -1
	v_add_co_u32 v3, s1, v10, s2
	v_cmp_gt_i64_e32 vcc_lo, s[16:17], v[0:1]
	v_add3_u32 v5, v9, s4, v2
	v_add_co_ci_u32_e64 v4, s1, s3, v11, s1
	s_waitcnt lgkmcnt(0)
	s_waitcnt_vscnt null, 0x0
	s_barrier
	s_and_b32 s2, vcc_lo, s0
	buffer_gl0_inv
	s_and_saveexec_b32 s1, s2
	s_cbranch_execz .LBB11_155
; %bb.154:
	v_mul_lo_u32 v6, v1, s10
	v_mul_lo_u32 v7, v0, s11
	v_mad_u64_u32 v[1:2], null, v0, s10, 0
	ds_load_b32 v8, v5
	v_add3_u32 v2, v2, v7, v6
	s_delay_alu instid0(VALU_DEP_1) | instskip(NEXT) | instid1(VALU_DEP_1)
	v_lshlrev_b64 v[1:2], 2, v[1:2]
	v_add_co_u32 v1, vcc_lo, v3, v1
	s_delay_alu instid0(VALU_DEP_2)
	v_add_co_ci_u32_e32 v2, vcc_lo, v4, v2, vcc_lo
	s_waitcnt lgkmcnt(0)
	global_store_b32 v[1:2], v8, off
.LBB11_155:
	s_or_b32 exec_lo, exec_lo, s1
	v_add_nc_u32_e32 v1, 8, v0
	s_delay_alu instid0(VALU_DEP_1) | instskip(NEXT) | instid1(VALU_DEP_1)
	v_ashrrev_i32_e32 v2, 31, v1
	v_cmp_gt_i64_e32 vcc_lo, s[16:17], v[1:2]
	s_and_b32 s2, vcc_lo, s0
	s_delay_alu instid0(SALU_CYCLE_1)
	s_and_saveexec_b32 s1, s2
	s_cbranch_execz .LBB11_157
; %bb.156:
	v_mul_lo_u32 v2, v2, s10
	v_mul_lo_u32 v8, v1, s11
	v_mad_u64_u32 v[6:7], null, v1, s10, 0
	ds_load_b32 v9, v5 offset:32
	v_add3_u32 v7, v7, v8, v2
	s_delay_alu instid0(VALU_DEP_1) | instskip(NEXT) | instid1(VALU_DEP_1)
	v_lshlrev_b64 v[1:2], 2, v[6:7]
	v_add_co_u32 v1, vcc_lo, v3, v1
	s_delay_alu instid0(VALU_DEP_2)
	v_add_co_ci_u32_e32 v2, vcc_lo, v4, v2, vcc_lo
	s_waitcnt lgkmcnt(0)
	global_store_b32 v[1:2], v9, off
.LBB11_157:
	s_or_b32 exec_lo, exec_lo, s1
	v_add_nc_u32_e32 v1, 16, v0
	s_delay_alu instid0(VALU_DEP_1) | instskip(NEXT) | instid1(VALU_DEP_1)
	v_ashrrev_i32_e32 v2, 31, v1
	v_cmp_gt_i64_e32 vcc_lo, s[16:17], v[1:2]
	s_and_b32 s2, vcc_lo, s0
	s_delay_alu instid0(SALU_CYCLE_1)
	s_and_saveexec_b32 s1, s2
	s_cbranch_execz .LBB11_159
; %bb.158:
	v_mul_lo_u32 v2, v2, s10
	v_mul_lo_u32 v8, v1, s11
	v_mad_u64_u32 v[6:7], null, v1, s10, 0
	ds_load_b32 v9, v5 offset:64
	v_add3_u32 v7, v7, v8, v2
	s_delay_alu instid0(VALU_DEP_1) | instskip(NEXT) | instid1(VALU_DEP_1)
	v_lshlrev_b64 v[1:2], 2, v[6:7]
	v_add_co_u32 v1, vcc_lo, v3, v1
	s_delay_alu instid0(VALU_DEP_2)
	v_add_co_ci_u32_e32 v2, vcc_lo, v4, v2, vcc_lo
	s_waitcnt lgkmcnt(0)
	global_store_b32 v[1:2], v9, off
.LBB11_159:
	s_or_b32 exec_lo, exec_lo, s1
	v_add_nc_u32_e32 v0, 24, v0
	s_delay_alu instid0(VALU_DEP_1) | instskip(NEXT) | instid1(VALU_DEP_1)
	v_ashrrev_i32_e32 v1, 31, v0
	v_cmp_gt_i64_e32 vcc_lo, s[16:17], v[0:1]
	s_and_b32 s0, vcc_lo, s0
	s_delay_alu instid0(SALU_CYCLE_1)
	s_and_saveexec_b32 s1, s0
	s_cbranch_execz .LBB11_161
; %bb.160:
	v_mul_lo_u32 v6, v1, s10
	v_mul_lo_u32 v7, v0, s11
	v_mad_u64_u32 v[1:2], null, v0, s10, 0
	ds_load_b32 v5, v5 offset:96
	v_add3_u32 v2, v2, v7, v6
	s_delay_alu instid0(VALU_DEP_1) | instskip(NEXT) | instid1(VALU_DEP_1)
	v_lshlrev_b64 v[0:1], 2, v[1:2]
	v_add_co_u32 v0, vcc_lo, v3, v0
	s_delay_alu instid0(VALU_DEP_2)
	v_add_co_ci_u32_e32 v1, vcc_lo, v4, v1, vcc_lo
	s_waitcnt lgkmcnt(0)
	global_store_b32 v[0:1], v5, off
.LBB11_161:
	s_nop 0
	s_sendmsg sendmsg(MSG_DEALLOC_VGPRS)
	s_endpgm
.LBB11_162:
                                        ; implicit-def: $vgpr4_vgpr5
	s_branch .LBB11_2
	.section	.rodata,"a",@progbits
	.p2align	6, 0x0
	.amdhsa_kernel _ZL20cpy_scalar_transposeIfEvPKcPclllllllllllllll
		.amdhsa_group_segment_fixed_size 8448
		.amdhsa_private_segment_fixed_size 0
		.amdhsa_kernarg_size 136
		.amdhsa_user_sgpr_count 13
		.amdhsa_user_sgpr_dispatch_ptr 0
		.amdhsa_user_sgpr_queue_ptr 0
		.amdhsa_user_sgpr_kernarg_segment_ptr 1
		.amdhsa_user_sgpr_dispatch_id 0
		.amdhsa_user_sgpr_private_segment_size 0
		.amdhsa_wavefront_size32 1
		.amdhsa_uses_dynamic_stack 0
		.amdhsa_enable_private_segment 0
		.amdhsa_system_sgpr_workgroup_id_x 1
		.amdhsa_system_sgpr_workgroup_id_y 1
		.amdhsa_system_sgpr_workgroup_id_z 1
		.amdhsa_system_sgpr_workgroup_info 0
		.amdhsa_system_vgpr_workitem_id 1
		.amdhsa_next_free_vgpr 21
		.amdhsa_next_free_sgpr 30
		.amdhsa_reserve_vcc 1
		.amdhsa_float_round_mode_32 0
		.amdhsa_float_round_mode_16_64 0
		.amdhsa_float_denorm_mode_32 3
		.amdhsa_float_denorm_mode_16_64 3
		.amdhsa_dx10_clamp 1
		.amdhsa_ieee_mode 1
		.amdhsa_fp16_overflow 0
		.amdhsa_workgroup_processor_mode 1
		.amdhsa_memory_ordered 1
		.amdhsa_forward_progress 0
		.amdhsa_shared_vgpr_count 0
		.amdhsa_exception_fp_ieee_invalid_op 0
		.amdhsa_exception_fp_denorm_src 0
		.amdhsa_exception_fp_ieee_div_zero 0
		.amdhsa_exception_fp_ieee_overflow 0
		.amdhsa_exception_fp_ieee_underflow 0
		.amdhsa_exception_fp_ieee_inexact 0
		.amdhsa_exception_int_div_zero 0
	.end_amdhsa_kernel
	.section	.text._ZL20cpy_scalar_transposeIfEvPKcPclllllllllllllll,"axG",@progbits,_ZL20cpy_scalar_transposeIfEvPKcPclllllllllllllll,comdat
.Lfunc_end11:
	.size	_ZL20cpy_scalar_transposeIfEvPKcPclllllllllllllll, .Lfunc_end11-_ZL20cpy_scalar_transposeIfEvPKcPclllllllllllllll
                                        ; -- End function
	.section	.AMDGPU.csdata,"",@progbits
; Kernel info:
; codeLenInByte = 9868
; NumSgprs: 32
; NumVgprs: 21
; ScratchSize: 0
; MemoryBound: 0
; FloatMode: 240
; IeeeMode: 1
; LDSByteSize: 8448 bytes/workgroup (compile time only)
; SGPRBlocks: 3
; VGPRBlocks: 2
; NumSGPRsForWavesPerEU: 32
; NumVGPRsForWavesPerEU: 21
; Occupancy: 16
; WaveLimiterHint : 0
; COMPUTE_PGM_RSRC2:SCRATCH_EN: 0
; COMPUTE_PGM_RSRC2:USER_SGPR: 13
; COMPUTE_PGM_RSRC2:TRAP_HANDLER: 0
; COMPUTE_PGM_RSRC2:TGID_X_EN: 1
; COMPUTE_PGM_RSRC2:TGID_Y_EN: 1
; COMPUTE_PGM_RSRC2:TGID_Z_EN: 1
; COMPUTE_PGM_RSRC2:TIDIG_COMP_CNT: 1
	.section	.text._ZL10cpy_scalarIXadL_ZL12cpy_1_scalarIffEvPKcPcEEEvS2_S3_lllllllllllllll,"axG",@progbits,_ZL10cpy_scalarIXadL_ZL12cpy_1_scalarIffEvPKcPcEEEvS2_S3_lllllllllllllll,comdat
	.globl	_ZL10cpy_scalarIXadL_ZL12cpy_1_scalarIffEvPKcPcEEEvS2_S3_lllllllllllllll ; -- Begin function _ZL10cpy_scalarIXadL_ZL12cpy_1_scalarIffEvPKcPcEEEvS2_S3_lllllllllllllll
	.p2align	8
	.type	_ZL10cpy_scalarIXadL_ZL12cpy_1_scalarIffEvPKcPcEEEvS2_S3_lllllllllllllll,@function
_ZL10cpy_scalarIXadL_ZL12cpy_1_scalarIffEvPKcPcEEEvS2_S3_lllllllllllllll: ; @_ZL10cpy_scalarIXadL_ZL12cpy_1_scalarIffEvPKcPcEEEvS2_S3_lllllllllllllll
; %bb.0:
	s_clause 0x1
	s_load_b32 s2, s[0:1], 0x94
	s_load_b512 s[16:31], s[0:1], 0x0
	v_mov_b32_e32 v2, 0
	s_delay_alu instid0(VALU_DEP_1)
	v_mov_b32_e32 v1, v2
	s_waitcnt lgkmcnt(0)
	s_and_b32 s2, s2, 0xffff
	s_delay_alu instid0(VALU_DEP_1) | instid1(SALU_CYCLE_1)
	v_mad_u64_u32 v[4:5], null, s2, s15, v[0:1]
	s_mov_b32 s2, exec_lo
	s_delay_alu instid0(VALU_DEP_1)
	v_cmpx_gt_i64_e64 s[20:21], v[4:5]
	s_cbranch_execz .LBB12_26
; %bb.1:
	s_mul_i32 s2, s24, s23
	s_mul_hi_u32 s3, s24, s22
	v_ashrrev_i32_e32 v10, 31, v5
	s_add_i32 s8, s3, s2
	s_mul_i32 s3, s24, s22
	s_mul_i32 s2, s25, s22
	;; [unrolled: 1-line block ×3, first 2 shown]
	s_mul_hi_u32 s5, s3, s26
	s_add_i32 s8, s8, s2
	s_add_i32 s2, s5, s4
	s_mul_i32 s4, s8, s26
	s_mul_i32 s10, s3, s26
	s_add_i32 s9, s2, s4
                                        ; implicit-def: $vgpr0_vgpr1
	s_mov_b32 s2, exec_lo
	v_or_b32_e32 v3, s9, v5
	s_delay_alu instid0(VALU_DEP_1)
	v_cmpx_ne_u64_e32 0, v[2:3]
	s_xor_b32 s11, exec_lo, s2
	s_cbranch_execz .LBB12_3
; %bb.2:
	s_ashr_i32 s4, s9, 31
	s_delay_alu instid0(SALU_CYCLE_1) | instskip(SKIP_2) | instid1(SALU_CYCLE_1)
	s_add_u32 s6, s10, s4
	s_mov_b32 s5, s4
	s_addc_u32 s7, s9, s4
	s_xor_b64 s[6:7], s[6:7], s[4:5]
	s_delay_alu instid0(SALU_CYCLE_1) | instskip(SKIP_3) | instid1(VALU_DEP_1)
	v_cvt_f32_u32_e32 v0, s6
	v_cvt_f32_u32_e32 v1, s7
	s_sub_u32 s2, 0, s6
	s_subb_u32 s5, 0, s7
	v_fmamk_f32 v0, v1, 0x4f800000, v0
	s_delay_alu instid0(VALU_DEP_1) | instskip(SKIP_2) | instid1(VALU_DEP_1)
	v_rcp_f32_e32 v0, v0
	s_waitcnt_depctr 0xfff
	v_mul_f32_e32 v0, 0x5f7ffffc, v0
	v_mul_f32_e32 v1, 0x2f800000, v0
	s_delay_alu instid0(VALU_DEP_1) | instskip(NEXT) | instid1(VALU_DEP_1)
	v_trunc_f32_e32 v1, v1
	v_fmamk_f32 v0, v1, 0xcf800000, v0
	v_cvt_u32_f32_e32 v1, v1
	s_delay_alu instid0(VALU_DEP_2) | instskip(NEXT) | instid1(VALU_DEP_2)
	v_cvt_u32_f32_e32 v0, v0
	v_mul_lo_u32 v2, s2, v1
	s_delay_alu instid0(VALU_DEP_2) | instskip(SKIP_1) | instid1(VALU_DEP_2)
	v_mul_hi_u32 v3, s2, v0
	v_mul_lo_u32 v6, s5, v0
	v_add_nc_u32_e32 v2, v3, v2
	v_mul_lo_u32 v3, s2, v0
	s_delay_alu instid0(VALU_DEP_2) | instskip(NEXT) | instid1(VALU_DEP_2)
	v_add_nc_u32_e32 v2, v2, v6
	v_mul_hi_u32 v6, v0, v3
	s_delay_alu instid0(VALU_DEP_2)
	v_mul_lo_u32 v7, v0, v2
	v_mul_hi_u32 v8, v0, v2
	v_mul_hi_u32 v9, v1, v3
	v_mul_lo_u32 v3, v1, v3
	v_mul_hi_u32 v11, v1, v2
	v_mul_lo_u32 v2, v1, v2
	v_add_co_u32 v6, vcc_lo, v6, v7
	v_add_co_ci_u32_e32 v7, vcc_lo, 0, v8, vcc_lo
	s_delay_alu instid0(VALU_DEP_2) | instskip(NEXT) | instid1(VALU_DEP_2)
	v_add_co_u32 v3, vcc_lo, v6, v3
	v_add_co_ci_u32_e32 v3, vcc_lo, v7, v9, vcc_lo
	v_add_co_ci_u32_e32 v6, vcc_lo, 0, v11, vcc_lo
	s_delay_alu instid0(VALU_DEP_2) | instskip(NEXT) | instid1(VALU_DEP_2)
	v_add_co_u32 v2, vcc_lo, v3, v2
	v_add_co_ci_u32_e32 v3, vcc_lo, 0, v6, vcc_lo
	s_delay_alu instid0(VALU_DEP_2) | instskip(NEXT) | instid1(VALU_DEP_2)
	v_add_co_u32 v0, vcc_lo, v0, v2
	v_add_co_ci_u32_e32 v1, vcc_lo, v1, v3, vcc_lo
	s_delay_alu instid0(VALU_DEP_2) | instskip(SKIP_1) | instid1(VALU_DEP_3)
	v_mul_hi_u32 v2, s2, v0
	v_mul_lo_u32 v6, s5, v0
	v_mul_lo_u32 v3, s2, v1
	s_delay_alu instid0(VALU_DEP_1) | instskip(SKIP_1) | instid1(VALU_DEP_2)
	v_add_nc_u32_e32 v2, v2, v3
	v_mul_lo_u32 v3, s2, v0
	v_add_nc_u32_e32 v2, v2, v6
	s_delay_alu instid0(VALU_DEP_2) | instskip(NEXT) | instid1(VALU_DEP_2)
	v_mul_hi_u32 v6, v0, v3
	v_mul_lo_u32 v7, v0, v2
	v_mul_hi_u32 v8, v0, v2
	v_mul_hi_u32 v9, v1, v3
	v_mul_lo_u32 v3, v1, v3
	v_mul_hi_u32 v11, v1, v2
	v_mul_lo_u32 v2, v1, v2
	v_add_co_u32 v6, vcc_lo, v6, v7
	v_add_co_ci_u32_e32 v7, vcc_lo, 0, v8, vcc_lo
	s_delay_alu instid0(VALU_DEP_2) | instskip(NEXT) | instid1(VALU_DEP_2)
	v_add_co_u32 v3, vcc_lo, v6, v3
	v_add_co_ci_u32_e32 v3, vcc_lo, v7, v9, vcc_lo
	v_add_co_ci_u32_e32 v6, vcc_lo, 0, v11, vcc_lo
	v_add_co_u32 v7, vcc_lo, v4, v10
	v_add_co_ci_u32_e32 v8, vcc_lo, v5, v10, vcc_lo
	s_delay_alu instid0(VALU_DEP_4) | instskip(NEXT) | instid1(VALU_DEP_4)
	v_add_co_u32 v2, vcc_lo, v3, v2
	v_add_co_ci_u32_e32 v3, vcc_lo, 0, v6, vcc_lo
	s_delay_alu instid0(VALU_DEP_4) | instskip(NEXT) | instid1(VALU_DEP_3)
	v_xor_b32_e32 v9, v7, v10
	v_add_co_u32 v6, vcc_lo, v0, v2
	s_delay_alu instid0(VALU_DEP_3) | instskip(SKIP_1) | instid1(VALU_DEP_3)
	v_add_co_ci_u32_e32 v11, vcc_lo, v1, v3, vcc_lo
	v_xor_b32_e32 v8, v8, v10
	v_mul_hi_u32 v12, v9, v6
	s_delay_alu instid0(VALU_DEP_3) | instskip(NEXT) | instid1(VALU_DEP_3)
	v_mad_u64_u32 v[0:1], null, v9, v11, 0
	v_mad_u64_u32 v[2:3], null, v8, v6, 0
	;; [unrolled: 1-line block ×3, first 2 shown]
	s_delay_alu instid0(VALU_DEP_3) | instskip(NEXT) | instid1(VALU_DEP_4)
	v_add_co_u32 v0, vcc_lo, v12, v0
	v_add_co_ci_u32_e32 v1, vcc_lo, 0, v1, vcc_lo
	s_delay_alu instid0(VALU_DEP_2) | instskip(NEXT) | instid1(VALU_DEP_2)
	v_add_co_u32 v0, vcc_lo, v0, v2
	v_add_co_ci_u32_e32 v0, vcc_lo, v1, v3, vcc_lo
	v_add_co_ci_u32_e32 v1, vcc_lo, 0, v7, vcc_lo
	s_delay_alu instid0(VALU_DEP_2) | instskip(NEXT) | instid1(VALU_DEP_2)
	v_add_co_u32 v2, vcc_lo, v0, v6
	v_add_co_ci_u32_e32 v3, vcc_lo, 0, v1, vcc_lo
	s_delay_alu instid0(VALU_DEP_2) | instskip(SKIP_1) | instid1(VALU_DEP_3)
	v_mul_lo_u32 v6, s7, v2
	v_mad_u64_u32 v[0:1], null, s6, v2, 0
	v_mul_lo_u32 v7, s6, v3
	s_delay_alu instid0(VALU_DEP_2) | instskip(NEXT) | instid1(VALU_DEP_2)
	v_sub_co_u32 v0, vcc_lo, v9, v0
	v_add3_u32 v1, v1, v7, v6
	s_delay_alu instid0(VALU_DEP_1) | instskip(NEXT) | instid1(VALU_DEP_1)
	v_sub_nc_u32_e32 v6, v8, v1
	v_subrev_co_ci_u32_e64 v6, s2, s7, v6, vcc_lo
	v_add_co_u32 v7, s2, v2, 2
	s_delay_alu instid0(VALU_DEP_1) | instskip(SKIP_3) | instid1(VALU_DEP_3)
	v_add_co_ci_u32_e64 v9, s2, 0, v3, s2
	v_sub_co_u32 v11, s2, v0, s6
	v_sub_co_ci_u32_e32 v1, vcc_lo, v8, v1, vcc_lo
	v_subrev_co_ci_u32_e64 v6, s2, 0, v6, s2
	v_cmp_le_u32_e32 vcc_lo, s6, v11
	s_delay_alu instid0(VALU_DEP_3) | instskip(SKIP_1) | instid1(VALU_DEP_4)
	v_cmp_eq_u32_e64 s2, s7, v1
	v_cndmask_b32_e64 v8, 0, -1, vcc_lo
	v_cmp_le_u32_e32 vcc_lo, s7, v6
	v_cndmask_b32_e64 v11, 0, -1, vcc_lo
	v_cmp_le_u32_e32 vcc_lo, s6, v0
	;; [unrolled: 2-line block ×3, first 2 shown]
	v_cndmask_b32_e64 v12, 0, -1, vcc_lo
	v_cmp_eq_u32_e32 vcc_lo, s7, v6
	s_delay_alu instid0(VALU_DEP_2) | instskip(SKIP_3) | instid1(VALU_DEP_3)
	v_cndmask_b32_e64 v0, v12, v0, s2
	v_cndmask_b32_e32 v6, v11, v8, vcc_lo
	v_add_co_u32 v8, vcc_lo, v2, 1
	v_add_co_ci_u32_e32 v11, vcc_lo, 0, v3, vcc_lo
	v_cmp_ne_u32_e32 vcc_lo, 0, v6
	s_delay_alu instid0(VALU_DEP_2) | instskip(SKIP_2) | instid1(VALU_DEP_3)
	v_dual_cndmask_b32 v1, v11, v9 :: v_dual_cndmask_b32 v6, v8, v7
	v_cmp_ne_u32_e32 vcc_lo, 0, v0
	v_xor_b32_e32 v7, s4, v10
	v_dual_cndmask_b32 v0, v3, v1 :: v_dual_cndmask_b32 v1, v2, v6
	s_delay_alu instid0(VALU_DEP_1) | instskip(NEXT) | instid1(VALU_DEP_2)
	v_xor_b32_e32 v2, v0, v7
	v_xor_b32_e32 v1, v1, v7
	s_delay_alu instid0(VALU_DEP_1) | instskip(NEXT) | instid1(VALU_DEP_3)
	v_sub_co_u32 v0, vcc_lo, v1, v7
	v_sub_co_ci_u32_e32 v1, vcc_lo, v2, v7, vcc_lo
.LBB12_3:
	s_and_not1_saveexec_b32 s2, s11
	s_cbranch_execz .LBB12_5
; %bb.4:
	v_cvt_f32_u32_e32 v0, s10
	s_sub_i32 s4, 0, s10
	s_delay_alu instid0(VALU_DEP_1) | instskip(SKIP_2) | instid1(VALU_DEP_1)
	v_rcp_iflag_f32_e32 v0, v0
	s_waitcnt_depctr 0xfff
	v_mul_f32_e32 v0, 0x4f7ffffe, v0
	v_cvt_u32_f32_e32 v0, v0
	s_delay_alu instid0(VALU_DEP_1) | instskip(NEXT) | instid1(VALU_DEP_1)
	v_mul_lo_u32 v1, s4, v0
	v_mul_hi_u32 v1, v0, v1
	s_delay_alu instid0(VALU_DEP_1) | instskip(NEXT) | instid1(VALU_DEP_1)
	v_add_nc_u32_e32 v0, v0, v1
	v_mul_hi_u32 v0, v4, v0
	s_delay_alu instid0(VALU_DEP_1) | instskip(SKIP_1) | instid1(VALU_DEP_2)
	v_mul_lo_u32 v1, v0, s10
	v_add_nc_u32_e32 v2, 1, v0
	v_sub_nc_u32_e32 v1, v4, v1
	s_delay_alu instid0(VALU_DEP_1) | instskip(SKIP_1) | instid1(VALU_DEP_2)
	v_subrev_nc_u32_e32 v3, s10, v1
	v_cmp_le_u32_e32 vcc_lo, s10, v1
	v_dual_cndmask_b32 v1, v1, v3 :: v_dual_cndmask_b32 v0, v0, v2
	s_delay_alu instid0(VALU_DEP_1) | instskip(NEXT) | instid1(VALU_DEP_2)
	v_cmp_le_u32_e32 vcc_lo, s10, v1
	v_dual_mov_b32 v1, 0 :: v_dual_add_nc_u32 v2, 1, v0
	s_delay_alu instid0(VALU_DEP_1)
	v_cndmask_b32_e32 v0, v0, v2, vcc_lo
.LBB12_5:
	s_or_b32 exec_lo, exec_lo, s2
	s_delay_alu instid0(VALU_DEP_1) | instskip(NEXT) | instid1(VALU_DEP_2)
	v_mul_lo_u32 v6, s9, v0
	v_mul_lo_u32 v7, s10, v1
	v_mad_u64_u32 v[2:3], null, s10, v0, 0
	s_delay_alu instid0(VALU_DEP_1) | instskip(NEXT) | instid1(VALU_DEP_2)
	v_add3_u32 v3, v3, v7, v6
	v_sub_co_u32 v6, vcc_lo, v4, v2
	v_mov_b32_e32 v2, 0
	s_delay_alu instid0(VALU_DEP_3) | instskip(NEXT) | instid1(VALU_DEP_1)
	v_sub_co_ci_u32_e32 v7, vcc_lo, v5, v3, vcc_lo
	v_or_b32_e32 v3, s8, v7
	s_delay_alu instid0(VALU_DEP_1) | instskip(SKIP_1) | instid1(SALU_CYCLE_1)
	v_cmp_ne_u64_e32 vcc_lo, 0, v[2:3]
                                        ; implicit-def: $vgpr2_vgpr3
	s_and_saveexec_b32 s2, vcc_lo
	s_xor_b32 s9, exec_lo, s2
	s_cbranch_execz .LBB12_7
; %bb.6:
	s_ashr_i32 s4, s8, 31
	s_delay_alu instid0(SALU_CYCLE_1) | instskip(SKIP_2) | instid1(SALU_CYCLE_1)
	s_add_u32 s6, s3, s4
	s_mov_b32 s5, s4
	s_addc_u32 s7, s8, s4
	s_xor_b64 s[6:7], s[6:7], s[4:5]
	s_delay_alu instid0(SALU_CYCLE_1) | instskip(SKIP_3) | instid1(VALU_DEP_1)
	v_cvt_f32_u32_e32 v2, s6
	v_cvt_f32_u32_e32 v3, s7
	s_sub_u32 s2, 0, s6
	s_subb_u32 s5, 0, s7
	v_fmamk_f32 v2, v3, 0x4f800000, v2
	s_delay_alu instid0(VALU_DEP_1) | instskip(SKIP_2) | instid1(VALU_DEP_1)
	v_rcp_f32_e32 v2, v2
	s_waitcnt_depctr 0xfff
	v_mul_f32_e32 v2, 0x5f7ffffc, v2
	v_mul_f32_e32 v3, 0x2f800000, v2
	s_delay_alu instid0(VALU_DEP_1) | instskip(NEXT) | instid1(VALU_DEP_1)
	v_trunc_f32_e32 v3, v3
	v_fmamk_f32 v2, v3, 0xcf800000, v2
	v_cvt_u32_f32_e32 v3, v3
	s_delay_alu instid0(VALU_DEP_2) | instskip(NEXT) | instid1(VALU_DEP_2)
	v_cvt_u32_f32_e32 v2, v2
	v_mul_lo_u32 v8, s2, v3
	s_delay_alu instid0(VALU_DEP_2) | instskip(SKIP_1) | instid1(VALU_DEP_2)
	v_mul_hi_u32 v9, s2, v2
	v_mul_lo_u32 v11, s5, v2
	v_add_nc_u32_e32 v8, v9, v8
	v_mul_lo_u32 v9, s2, v2
	s_delay_alu instid0(VALU_DEP_2) | instskip(NEXT) | instid1(VALU_DEP_2)
	v_add_nc_u32_e32 v8, v8, v11
	v_mul_hi_u32 v11, v2, v9
	s_delay_alu instid0(VALU_DEP_2)
	v_mul_lo_u32 v12, v2, v8
	v_mul_hi_u32 v13, v2, v8
	v_mul_hi_u32 v14, v3, v9
	v_mul_lo_u32 v9, v3, v9
	v_mul_hi_u32 v15, v3, v8
	v_mul_lo_u32 v8, v3, v8
	v_add_co_u32 v11, vcc_lo, v11, v12
	v_add_co_ci_u32_e32 v12, vcc_lo, 0, v13, vcc_lo
	s_delay_alu instid0(VALU_DEP_2) | instskip(NEXT) | instid1(VALU_DEP_2)
	v_add_co_u32 v9, vcc_lo, v11, v9
	v_add_co_ci_u32_e32 v9, vcc_lo, v12, v14, vcc_lo
	v_add_co_ci_u32_e32 v11, vcc_lo, 0, v15, vcc_lo
	v_ashrrev_i32_e32 v14, 31, v7
	s_delay_alu instid0(VALU_DEP_3) | instskip(NEXT) | instid1(VALU_DEP_3)
	v_add_co_u32 v8, vcc_lo, v9, v8
	v_add_co_ci_u32_e32 v9, vcc_lo, 0, v11, vcc_lo
	s_delay_alu instid0(VALU_DEP_2) | instskip(NEXT) | instid1(VALU_DEP_2)
	v_add_co_u32 v2, vcc_lo, v2, v8
	v_add_co_ci_u32_e32 v3, vcc_lo, v3, v9, vcc_lo
	s_delay_alu instid0(VALU_DEP_2) | instskip(SKIP_1) | instid1(VALU_DEP_3)
	v_mul_hi_u32 v8, s2, v2
	v_mul_lo_u32 v11, s5, v2
	v_mul_lo_u32 v9, s2, v3
	s_delay_alu instid0(VALU_DEP_1) | instskip(SKIP_1) | instid1(VALU_DEP_2)
	v_add_nc_u32_e32 v8, v8, v9
	v_mul_lo_u32 v9, s2, v2
	v_add_nc_u32_e32 v8, v8, v11
	s_delay_alu instid0(VALU_DEP_2) | instskip(NEXT) | instid1(VALU_DEP_2)
	v_mul_hi_u32 v11, v2, v9
	v_mul_lo_u32 v12, v2, v8
	v_mul_hi_u32 v13, v2, v8
	v_mul_hi_u32 v15, v3, v9
	v_mul_lo_u32 v9, v3, v9
	v_mul_hi_u32 v16, v3, v8
	v_mul_lo_u32 v8, v3, v8
	v_add_co_u32 v11, vcc_lo, v11, v12
	v_add_co_ci_u32_e32 v12, vcc_lo, 0, v13, vcc_lo
	s_delay_alu instid0(VALU_DEP_2) | instskip(NEXT) | instid1(VALU_DEP_2)
	v_add_co_u32 v9, vcc_lo, v11, v9
	v_add_co_ci_u32_e32 v9, vcc_lo, v12, v15, vcc_lo
	v_add_co_ci_u32_e32 v11, vcc_lo, 0, v16, vcc_lo
	v_add_co_u32 v12, vcc_lo, v6, v14
	v_add_co_ci_u32_e32 v13, vcc_lo, v7, v14, vcc_lo
	s_delay_alu instid0(VALU_DEP_4) | instskip(NEXT) | instid1(VALU_DEP_4)
	v_add_co_u32 v8, vcc_lo, v9, v8
	v_add_co_ci_u32_e32 v9, vcc_lo, 0, v11, vcc_lo
	s_delay_alu instid0(VALU_DEP_4) | instskip(NEXT) | instid1(VALU_DEP_3)
	v_xor_b32_e32 v15, v12, v14
	v_add_co_u32 v11, vcc_lo, v2, v8
	s_delay_alu instid0(VALU_DEP_3) | instskip(SKIP_1) | instid1(VALU_DEP_3)
	v_add_co_ci_u32_e32 v16, vcc_lo, v3, v9, vcc_lo
	v_xor_b32_e32 v13, v13, v14
	v_mul_hi_u32 v17, v15, v11
	s_delay_alu instid0(VALU_DEP_3) | instskip(NEXT) | instid1(VALU_DEP_3)
	v_mad_u64_u32 v[2:3], null, v15, v16, 0
	v_mad_u64_u32 v[8:9], null, v13, v11, 0
	;; [unrolled: 1-line block ×3, first 2 shown]
	s_delay_alu instid0(VALU_DEP_3) | instskip(NEXT) | instid1(VALU_DEP_4)
	v_add_co_u32 v2, vcc_lo, v17, v2
	v_add_co_ci_u32_e32 v3, vcc_lo, 0, v3, vcc_lo
	s_delay_alu instid0(VALU_DEP_2) | instskip(NEXT) | instid1(VALU_DEP_2)
	v_add_co_u32 v2, vcc_lo, v2, v8
	v_add_co_ci_u32_e32 v2, vcc_lo, v3, v9, vcc_lo
	v_add_co_ci_u32_e32 v3, vcc_lo, 0, v12, vcc_lo
	s_delay_alu instid0(VALU_DEP_2) | instskip(NEXT) | instid1(VALU_DEP_2)
	v_add_co_u32 v8, vcc_lo, v2, v11
	v_add_co_ci_u32_e32 v9, vcc_lo, 0, v3, vcc_lo
	s_delay_alu instid0(VALU_DEP_2) | instskip(SKIP_1) | instid1(VALU_DEP_3)
	v_mul_lo_u32 v11, s7, v8
	v_mad_u64_u32 v[2:3], null, s6, v8, 0
	v_mul_lo_u32 v12, s6, v9
	s_delay_alu instid0(VALU_DEP_2) | instskip(NEXT) | instid1(VALU_DEP_2)
	v_sub_co_u32 v2, vcc_lo, v15, v2
	v_add3_u32 v3, v3, v12, v11
	s_delay_alu instid0(VALU_DEP_1) | instskip(NEXT) | instid1(VALU_DEP_1)
	v_sub_nc_u32_e32 v11, v13, v3
	v_subrev_co_ci_u32_e64 v11, s2, s7, v11, vcc_lo
	v_add_co_u32 v12, s2, v8, 2
	s_delay_alu instid0(VALU_DEP_1) | instskip(SKIP_3) | instid1(VALU_DEP_3)
	v_add_co_ci_u32_e64 v15, s2, 0, v9, s2
	v_sub_co_u32 v16, s2, v2, s6
	v_sub_co_ci_u32_e32 v3, vcc_lo, v13, v3, vcc_lo
	v_subrev_co_ci_u32_e64 v11, s2, 0, v11, s2
	v_cmp_le_u32_e32 vcc_lo, s6, v16
	s_delay_alu instid0(VALU_DEP_3) | instskip(SKIP_1) | instid1(VALU_DEP_4)
	v_cmp_eq_u32_e64 s2, s7, v3
	v_cndmask_b32_e64 v13, 0, -1, vcc_lo
	v_cmp_le_u32_e32 vcc_lo, s7, v11
	v_cndmask_b32_e64 v16, 0, -1, vcc_lo
	v_cmp_le_u32_e32 vcc_lo, s6, v2
	;; [unrolled: 2-line block ×3, first 2 shown]
	v_cndmask_b32_e64 v17, 0, -1, vcc_lo
	v_cmp_eq_u32_e32 vcc_lo, s7, v11
	s_delay_alu instid0(VALU_DEP_2) | instskip(SKIP_3) | instid1(VALU_DEP_3)
	v_cndmask_b32_e64 v2, v17, v2, s2
	v_cndmask_b32_e32 v11, v16, v13, vcc_lo
	v_add_co_u32 v13, vcc_lo, v8, 1
	v_add_co_ci_u32_e32 v16, vcc_lo, 0, v9, vcc_lo
	v_cmp_ne_u32_e32 vcc_lo, 0, v11
	s_delay_alu instid0(VALU_DEP_3) | instskip(NEXT) | instid1(VALU_DEP_3)
	v_cndmask_b32_e32 v11, v13, v12, vcc_lo
	v_cndmask_b32_e32 v3, v16, v15, vcc_lo
	v_cmp_ne_u32_e32 vcc_lo, 0, v2
	v_xor_b32_e32 v12, s4, v14
	s_delay_alu instid0(VALU_DEP_3) | instskip(SKIP_1) | instid1(VALU_DEP_2)
	v_cndmask_b32_e32 v2, v9, v3, vcc_lo
	v_cndmask_b32_e32 v3, v8, v11, vcc_lo
	v_xor_b32_e32 v8, v2, v12
	s_delay_alu instid0(VALU_DEP_2) | instskip(NEXT) | instid1(VALU_DEP_1)
	v_xor_b32_e32 v3, v3, v12
	v_sub_co_u32 v2, vcc_lo, v3, v12
	s_delay_alu instid0(VALU_DEP_3)
	v_sub_co_ci_u32_e32 v3, vcc_lo, v8, v12, vcc_lo
.LBB12_7:
	s_and_not1_saveexec_b32 s2, s9
	s_cbranch_execz .LBB12_9
; %bb.8:
	v_cvt_f32_u32_e32 v2, s3
	s_sub_i32 s4, 0, s3
	s_delay_alu instid0(VALU_DEP_1) | instskip(SKIP_2) | instid1(VALU_DEP_1)
	v_rcp_iflag_f32_e32 v2, v2
	s_waitcnt_depctr 0xfff
	v_mul_f32_e32 v2, 0x4f7ffffe, v2
	v_cvt_u32_f32_e32 v2, v2
	s_delay_alu instid0(VALU_DEP_1) | instskip(NEXT) | instid1(VALU_DEP_1)
	v_mul_lo_u32 v3, s4, v2
	v_mul_hi_u32 v3, v2, v3
	s_delay_alu instid0(VALU_DEP_1) | instskip(NEXT) | instid1(VALU_DEP_1)
	v_add_nc_u32_e32 v2, v2, v3
	v_mul_hi_u32 v2, v6, v2
	s_delay_alu instid0(VALU_DEP_1) | instskip(SKIP_1) | instid1(VALU_DEP_2)
	v_mul_lo_u32 v3, v2, s3
	v_add_nc_u32_e32 v8, 1, v2
	v_sub_nc_u32_e32 v3, v6, v3
	s_delay_alu instid0(VALU_DEP_1) | instskip(SKIP_1) | instid1(VALU_DEP_2)
	v_subrev_nc_u32_e32 v9, s3, v3
	v_cmp_le_u32_e32 vcc_lo, s3, v3
	v_dual_cndmask_b32 v3, v3, v9 :: v_dual_cndmask_b32 v2, v2, v8
	s_delay_alu instid0(VALU_DEP_1) | instskip(NEXT) | instid1(VALU_DEP_2)
	v_cmp_le_u32_e32 vcc_lo, s3, v3
	v_dual_mov_b32 v3, 0 :: v_dual_add_nc_u32 v8, 1, v2
	s_delay_alu instid0(VALU_DEP_1)
	v_cndmask_b32_e32 v2, v2, v8, vcc_lo
.LBB12_9:
	s_or_b32 exec_lo, exec_lo, s2
	s_delay_alu instid0(VALU_DEP_1) | instskip(NEXT) | instid1(VALU_DEP_2)
	v_mul_lo_u32 v11, s8, v2
	v_mul_lo_u32 v12, s3, v3
	v_mad_u64_u32 v[8:9], null, s3, v2, 0
	s_delay_alu instid0(VALU_DEP_1) | instskip(NEXT) | instid1(VALU_DEP_2)
	v_add3_u32 v9, v9, v12, v11
	v_sub_co_u32 v12, vcc_lo, v6, v8
	v_mov_b32_e32 v6, 0
	s_delay_alu instid0(VALU_DEP_3) | instskip(NEXT) | instid1(VALU_DEP_1)
	v_sub_co_ci_u32_e32 v13, vcc_lo, v7, v9, vcc_lo
	v_or_b32_e32 v7, s23, v13
	s_delay_alu instid0(VALU_DEP_1) | instskip(SKIP_1) | instid1(SALU_CYCLE_1)
	v_cmp_ne_u64_e32 vcc_lo, 0, v[6:7]
                                        ; implicit-def: $vgpr6_vgpr7
	s_and_saveexec_b32 s2, vcc_lo
	s_xor_b32 s3, exec_lo, s2
	s_cbranch_execz .LBB12_11
; %bb.10:
	s_ashr_i32 s4, s23, 31
	s_delay_alu instid0(SALU_CYCLE_1) | instskip(SKIP_2) | instid1(SALU_CYCLE_1)
	s_add_u32 s6, s22, s4
	s_mov_b32 s5, s4
	s_addc_u32 s7, s23, s4
	s_xor_b64 s[6:7], s[6:7], s[4:5]
	s_delay_alu instid0(SALU_CYCLE_1) | instskip(SKIP_3) | instid1(VALU_DEP_1)
	v_cvt_f32_u32_e32 v6, s6
	v_cvt_f32_u32_e32 v7, s7
	s_sub_u32 s2, 0, s6
	s_subb_u32 s5, 0, s7
	v_fmamk_f32 v6, v7, 0x4f800000, v6
	s_delay_alu instid0(VALU_DEP_1) | instskip(SKIP_2) | instid1(VALU_DEP_1)
	v_rcp_f32_e32 v6, v6
	s_waitcnt_depctr 0xfff
	v_mul_f32_e32 v6, 0x5f7ffffc, v6
	v_mul_f32_e32 v7, 0x2f800000, v6
	s_delay_alu instid0(VALU_DEP_1) | instskip(NEXT) | instid1(VALU_DEP_1)
	v_trunc_f32_e32 v7, v7
	v_fmamk_f32 v6, v7, 0xcf800000, v6
	v_cvt_u32_f32_e32 v7, v7
	s_delay_alu instid0(VALU_DEP_2) | instskip(NEXT) | instid1(VALU_DEP_2)
	v_cvt_u32_f32_e32 v6, v6
	v_mul_lo_u32 v8, s2, v7
	s_delay_alu instid0(VALU_DEP_2) | instskip(SKIP_1) | instid1(VALU_DEP_2)
	v_mul_hi_u32 v9, s2, v6
	v_mul_lo_u32 v11, s5, v6
	v_add_nc_u32_e32 v8, v9, v8
	v_mul_lo_u32 v9, s2, v6
	s_delay_alu instid0(VALU_DEP_2) | instskip(NEXT) | instid1(VALU_DEP_2)
	v_add_nc_u32_e32 v8, v8, v11
	v_mul_hi_u32 v11, v6, v9
	s_delay_alu instid0(VALU_DEP_2)
	v_mul_lo_u32 v14, v6, v8
	v_mul_hi_u32 v15, v6, v8
	v_mul_hi_u32 v16, v7, v9
	v_mul_lo_u32 v9, v7, v9
	v_mul_hi_u32 v17, v7, v8
	v_mul_lo_u32 v8, v7, v8
	v_add_co_u32 v11, vcc_lo, v11, v14
	v_add_co_ci_u32_e32 v14, vcc_lo, 0, v15, vcc_lo
	s_delay_alu instid0(VALU_DEP_2) | instskip(NEXT) | instid1(VALU_DEP_2)
	v_add_co_u32 v9, vcc_lo, v11, v9
	v_add_co_ci_u32_e32 v9, vcc_lo, v14, v16, vcc_lo
	v_add_co_ci_u32_e32 v11, vcc_lo, 0, v17, vcc_lo
	v_ashrrev_i32_e32 v16, 31, v13
	s_delay_alu instid0(VALU_DEP_3) | instskip(NEXT) | instid1(VALU_DEP_3)
	v_add_co_u32 v8, vcc_lo, v9, v8
	v_add_co_ci_u32_e32 v9, vcc_lo, 0, v11, vcc_lo
	s_delay_alu instid0(VALU_DEP_2) | instskip(NEXT) | instid1(VALU_DEP_2)
	v_add_co_u32 v6, vcc_lo, v6, v8
	v_add_co_ci_u32_e32 v7, vcc_lo, v7, v9, vcc_lo
	s_delay_alu instid0(VALU_DEP_2) | instskip(SKIP_1) | instid1(VALU_DEP_3)
	v_mul_hi_u32 v8, s2, v6
	v_mul_lo_u32 v11, s5, v6
	v_mul_lo_u32 v9, s2, v7
	s_delay_alu instid0(VALU_DEP_1) | instskip(SKIP_1) | instid1(VALU_DEP_2)
	v_add_nc_u32_e32 v8, v8, v9
	v_mul_lo_u32 v9, s2, v6
	v_add_nc_u32_e32 v8, v8, v11
	s_delay_alu instid0(VALU_DEP_2) | instskip(NEXT) | instid1(VALU_DEP_2)
	v_mul_hi_u32 v11, v6, v9
	v_mul_lo_u32 v14, v6, v8
	v_mul_hi_u32 v15, v6, v8
	v_mul_hi_u32 v17, v7, v9
	v_mul_lo_u32 v9, v7, v9
	v_mul_hi_u32 v18, v7, v8
	v_mul_lo_u32 v8, v7, v8
	v_add_co_u32 v11, vcc_lo, v11, v14
	v_add_co_ci_u32_e32 v14, vcc_lo, 0, v15, vcc_lo
	s_delay_alu instid0(VALU_DEP_2) | instskip(NEXT) | instid1(VALU_DEP_2)
	v_add_co_u32 v9, vcc_lo, v11, v9
	v_add_co_ci_u32_e32 v9, vcc_lo, v14, v17, vcc_lo
	v_add_co_ci_u32_e32 v11, vcc_lo, 0, v18, vcc_lo
	v_add_co_u32 v14, vcc_lo, v12, v16
	v_add_co_ci_u32_e32 v15, vcc_lo, v13, v16, vcc_lo
	s_delay_alu instid0(VALU_DEP_4) | instskip(NEXT) | instid1(VALU_DEP_4)
	v_add_co_u32 v8, vcc_lo, v9, v8
	v_add_co_ci_u32_e32 v9, vcc_lo, 0, v11, vcc_lo
	s_delay_alu instid0(VALU_DEP_4) | instskip(NEXT) | instid1(VALU_DEP_3)
	v_xor_b32_e32 v11, v14, v16
	v_add_co_u32 v14, vcc_lo, v6, v8
	s_delay_alu instid0(VALU_DEP_3) | instskip(SKIP_1) | instid1(VALU_DEP_3)
	v_add_co_ci_u32_e32 v17, vcc_lo, v7, v9, vcc_lo
	v_xor_b32_e32 v18, v15, v16
	v_mul_hi_u32 v19, v11, v14
	s_delay_alu instid0(VALU_DEP_3) | instskip(NEXT) | instid1(VALU_DEP_3)
	v_mad_u64_u32 v[6:7], null, v11, v17, 0
	v_mad_u64_u32 v[8:9], null, v18, v14, 0
	;; [unrolled: 1-line block ×3, first 2 shown]
	s_delay_alu instid0(VALU_DEP_3) | instskip(NEXT) | instid1(VALU_DEP_4)
	v_add_co_u32 v6, vcc_lo, v19, v6
	v_add_co_ci_u32_e32 v7, vcc_lo, 0, v7, vcc_lo
	s_delay_alu instid0(VALU_DEP_2) | instskip(NEXT) | instid1(VALU_DEP_2)
	v_add_co_u32 v6, vcc_lo, v6, v8
	v_add_co_ci_u32_e32 v6, vcc_lo, v7, v9, vcc_lo
	v_add_co_ci_u32_e32 v7, vcc_lo, 0, v15, vcc_lo
	s_delay_alu instid0(VALU_DEP_2) | instskip(NEXT) | instid1(VALU_DEP_2)
	v_add_co_u32 v8, vcc_lo, v6, v14
	v_add_co_ci_u32_e32 v9, vcc_lo, 0, v7, vcc_lo
	s_delay_alu instid0(VALU_DEP_2) | instskip(SKIP_1) | instid1(VALU_DEP_3)
	v_mul_lo_u32 v14, s7, v8
	v_mad_u64_u32 v[6:7], null, s6, v8, 0
	v_mul_lo_u32 v15, s6, v9
	s_delay_alu instid0(VALU_DEP_2) | instskip(NEXT) | instid1(VALU_DEP_2)
	v_sub_co_u32 v6, vcc_lo, v11, v6
	v_add3_u32 v7, v7, v15, v14
	s_delay_alu instid0(VALU_DEP_1) | instskip(NEXT) | instid1(VALU_DEP_1)
	v_sub_nc_u32_e32 v14, v18, v7
	v_subrev_co_ci_u32_e64 v11, s2, s7, v14, vcc_lo
	v_add_co_u32 v14, s2, v8, 2
	s_delay_alu instid0(VALU_DEP_1) | instskip(SKIP_3) | instid1(VALU_DEP_3)
	v_add_co_ci_u32_e64 v15, s2, 0, v9, s2
	v_sub_co_u32 v17, s2, v6, s6
	v_sub_co_ci_u32_e32 v7, vcc_lo, v18, v7, vcc_lo
	v_subrev_co_ci_u32_e64 v11, s2, 0, v11, s2
	v_cmp_le_u32_e32 vcc_lo, s6, v17
	s_delay_alu instid0(VALU_DEP_3) | instskip(SKIP_1) | instid1(VALU_DEP_4)
	v_cmp_eq_u32_e64 s2, s7, v7
	v_cndmask_b32_e64 v17, 0, -1, vcc_lo
	v_cmp_le_u32_e32 vcc_lo, s7, v11
	v_cndmask_b32_e64 v18, 0, -1, vcc_lo
	v_cmp_le_u32_e32 vcc_lo, s6, v6
	;; [unrolled: 2-line block ×3, first 2 shown]
	v_cndmask_b32_e64 v19, 0, -1, vcc_lo
	v_cmp_eq_u32_e32 vcc_lo, s7, v11
	s_delay_alu instid0(VALU_DEP_2) | instskip(SKIP_3) | instid1(VALU_DEP_3)
	v_cndmask_b32_e64 v6, v19, v6, s2
	v_cndmask_b32_e32 v11, v18, v17, vcc_lo
	v_add_co_u32 v17, vcc_lo, v8, 1
	v_add_co_ci_u32_e32 v18, vcc_lo, 0, v9, vcc_lo
	v_cmp_ne_u32_e32 vcc_lo, 0, v11
	s_delay_alu instid0(VALU_DEP_3) | instskip(NEXT) | instid1(VALU_DEP_3)
	v_cndmask_b32_e32 v11, v17, v14, vcc_lo
	v_cndmask_b32_e32 v7, v18, v15, vcc_lo
	v_cmp_ne_u32_e32 vcc_lo, 0, v6
	v_xor_b32_e32 v14, s4, v16
	s_delay_alu instid0(VALU_DEP_3) | instskip(SKIP_1) | instid1(VALU_DEP_2)
	v_cndmask_b32_e32 v6, v9, v7, vcc_lo
	v_cndmask_b32_e32 v7, v8, v11, vcc_lo
	v_xor_b32_e32 v8, v6, v14
	s_delay_alu instid0(VALU_DEP_2) | instskip(NEXT) | instid1(VALU_DEP_1)
	v_xor_b32_e32 v7, v7, v14
	v_sub_co_u32 v6, vcc_lo, v7, v14
	s_delay_alu instid0(VALU_DEP_3)
	v_sub_co_ci_u32_e32 v7, vcc_lo, v8, v14, vcc_lo
.LBB12_11:
	s_and_not1_saveexec_b32 s2, s3
	s_cbranch_execz .LBB12_13
; %bb.12:
	v_cvt_f32_u32_e32 v6, s22
	s_sub_i32 s3, 0, s22
	s_delay_alu instid0(VALU_DEP_1) | instskip(SKIP_2) | instid1(VALU_DEP_1)
	v_rcp_iflag_f32_e32 v6, v6
	s_waitcnt_depctr 0xfff
	v_mul_f32_e32 v6, 0x4f7ffffe, v6
	v_cvt_u32_f32_e32 v6, v6
	s_delay_alu instid0(VALU_DEP_1) | instskip(NEXT) | instid1(VALU_DEP_1)
	v_mul_lo_u32 v7, s3, v6
	v_mul_hi_u32 v7, v6, v7
	s_delay_alu instid0(VALU_DEP_1) | instskip(NEXT) | instid1(VALU_DEP_1)
	v_add_nc_u32_e32 v6, v6, v7
	v_mul_hi_u32 v6, v12, v6
	s_delay_alu instid0(VALU_DEP_1) | instskip(SKIP_1) | instid1(VALU_DEP_2)
	v_mul_lo_u32 v7, v6, s22
	v_add_nc_u32_e32 v8, 1, v6
	v_sub_nc_u32_e32 v7, v12, v7
	s_delay_alu instid0(VALU_DEP_1) | instskip(SKIP_1) | instid1(VALU_DEP_2)
	v_subrev_nc_u32_e32 v9, s22, v7
	v_cmp_le_u32_e32 vcc_lo, s22, v7
	v_dual_cndmask_b32 v7, v7, v9 :: v_dual_cndmask_b32 v6, v6, v8
	s_delay_alu instid0(VALU_DEP_1) | instskip(NEXT) | instid1(VALU_DEP_2)
	v_cmp_le_u32_e32 vcc_lo, s22, v7
	v_dual_mov_b32 v7, 0 :: v_dual_add_nc_u32 v8, 1, v6
	s_delay_alu instid0(VALU_DEP_1)
	v_cndmask_b32_e32 v6, v6, v8, vcc_lo
.LBB12_13:
	s_or_b32 exec_lo, exec_lo, s2
	s_load_b512 s[36:51], s[0:1], 0x40
	v_mov_b32_e32 v8, 0
	s_waitcnt lgkmcnt(0)
	s_mul_i32 s2, s42, s41
	s_mul_hi_u32 s4, s42, s40
	s_mul_i32 s5, s43, s40
	s_mul_i32 s3, s42, s40
	s_add_i32 s8, s4, s2
	s_mul_i32 s2, s3, s45
	s_mul_hi_u32 s4, s3, s44
	s_add_i32 s8, s8, s5
	s_add_i32 s2, s4, s2
	s_mul_i32 s4, s8, s44
	s_mul_i32 s10, s3, s44
	s_add_i32 s9, s2, s4
	s_delay_alu instid0(SALU_CYCLE_1) | instskip(NEXT) | instid1(VALU_DEP_1)
	v_or_b32_e32 v9, s9, v5
	v_cmp_ne_u64_e32 vcc_lo, 0, v[8:9]
                                        ; implicit-def: $vgpr8_vgpr9
	s_and_saveexec_b32 s2, vcc_lo
	s_delay_alu instid0(SALU_CYCLE_1)
	s_xor_b32 s11, exec_lo, s2
	s_cbranch_execz .LBB12_15
; %bb.14:
	s_ashr_i32 s4, s9, 31
	s_delay_alu instid0(SALU_CYCLE_1) | instskip(SKIP_2) | instid1(SALU_CYCLE_1)
	s_add_u32 s6, s10, s4
	s_mov_b32 s5, s4
	s_addc_u32 s7, s9, s4
	s_xor_b64 s[6:7], s[6:7], s[4:5]
	s_delay_alu instid0(SALU_CYCLE_1) | instskip(SKIP_3) | instid1(VALU_DEP_1)
	v_cvt_f32_u32_e32 v8, s6
	v_cvt_f32_u32_e32 v9, s7
	s_sub_u32 s2, 0, s6
	s_subb_u32 s5, 0, s7
	v_fmamk_f32 v8, v9, 0x4f800000, v8
	s_delay_alu instid0(VALU_DEP_1) | instskip(SKIP_2) | instid1(VALU_DEP_1)
	v_rcp_f32_e32 v8, v8
	s_waitcnt_depctr 0xfff
	v_mul_f32_e32 v8, 0x5f7ffffc, v8
	v_mul_f32_e32 v9, 0x2f800000, v8
	s_delay_alu instid0(VALU_DEP_1) | instskip(NEXT) | instid1(VALU_DEP_1)
	v_trunc_f32_e32 v9, v9
	v_fmamk_f32 v8, v9, 0xcf800000, v8
	v_cvt_u32_f32_e32 v9, v9
	s_delay_alu instid0(VALU_DEP_2) | instskip(NEXT) | instid1(VALU_DEP_2)
	v_cvt_u32_f32_e32 v8, v8
	v_mul_lo_u32 v11, s2, v9
	s_delay_alu instid0(VALU_DEP_2) | instskip(SKIP_1) | instid1(VALU_DEP_2)
	v_mul_hi_u32 v14, s2, v8
	v_mul_lo_u32 v15, s5, v8
	v_add_nc_u32_e32 v11, v14, v11
	v_mul_lo_u32 v14, s2, v8
	s_delay_alu instid0(VALU_DEP_2) | instskip(NEXT) | instid1(VALU_DEP_2)
	v_add_nc_u32_e32 v11, v11, v15
	v_mul_hi_u32 v15, v8, v14
	s_delay_alu instid0(VALU_DEP_2)
	v_mul_lo_u32 v16, v8, v11
	v_mul_hi_u32 v17, v8, v11
	v_mul_hi_u32 v18, v9, v14
	v_mul_lo_u32 v14, v9, v14
	v_mul_hi_u32 v19, v9, v11
	v_mul_lo_u32 v11, v9, v11
	v_add_co_u32 v15, vcc_lo, v15, v16
	v_add_co_ci_u32_e32 v16, vcc_lo, 0, v17, vcc_lo
	s_delay_alu instid0(VALU_DEP_2) | instskip(NEXT) | instid1(VALU_DEP_2)
	v_add_co_u32 v14, vcc_lo, v15, v14
	v_add_co_ci_u32_e32 v14, vcc_lo, v16, v18, vcc_lo
	v_add_co_ci_u32_e32 v15, vcc_lo, 0, v19, vcc_lo
	s_delay_alu instid0(VALU_DEP_2) | instskip(NEXT) | instid1(VALU_DEP_2)
	v_add_co_u32 v11, vcc_lo, v14, v11
	v_add_co_ci_u32_e32 v14, vcc_lo, 0, v15, vcc_lo
	s_delay_alu instid0(VALU_DEP_2) | instskip(NEXT) | instid1(VALU_DEP_2)
	v_add_co_u32 v8, vcc_lo, v8, v11
	v_add_co_ci_u32_e32 v9, vcc_lo, v9, v14, vcc_lo
	s_delay_alu instid0(VALU_DEP_2) | instskip(SKIP_1) | instid1(VALU_DEP_3)
	v_mul_hi_u32 v11, s2, v8
	v_mul_lo_u32 v15, s5, v8
	v_mul_lo_u32 v14, s2, v9
	s_delay_alu instid0(VALU_DEP_1) | instskip(SKIP_1) | instid1(VALU_DEP_2)
	v_add_nc_u32_e32 v11, v11, v14
	v_mul_lo_u32 v14, s2, v8
	v_add_nc_u32_e32 v11, v11, v15
	s_delay_alu instid0(VALU_DEP_2) | instskip(NEXT) | instid1(VALU_DEP_2)
	v_mul_hi_u32 v15, v8, v14
	v_mul_lo_u32 v16, v8, v11
	v_mul_hi_u32 v17, v8, v11
	v_mul_hi_u32 v18, v9, v14
	v_mul_lo_u32 v14, v9, v14
	v_mul_hi_u32 v19, v9, v11
	v_mul_lo_u32 v11, v9, v11
	v_add_co_u32 v15, vcc_lo, v15, v16
	v_add_co_ci_u32_e32 v16, vcc_lo, 0, v17, vcc_lo
	s_delay_alu instid0(VALU_DEP_2) | instskip(NEXT) | instid1(VALU_DEP_2)
	v_add_co_u32 v14, vcc_lo, v15, v14
	v_add_co_ci_u32_e32 v14, vcc_lo, v16, v18, vcc_lo
	v_add_co_ci_u32_e32 v15, vcc_lo, 0, v19, vcc_lo
	v_add_co_u32 v16, vcc_lo, v4, v10
	v_add_co_ci_u32_e32 v17, vcc_lo, v5, v10, vcc_lo
	s_delay_alu instid0(VALU_DEP_4) | instskip(NEXT) | instid1(VALU_DEP_4)
	v_add_co_u32 v11, vcc_lo, v14, v11
	v_add_co_ci_u32_e32 v14, vcc_lo, 0, v15, vcc_lo
	s_delay_alu instid0(VALU_DEP_4) | instskip(NEXT) | instid1(VALU_DEP_3)
	v_xor_b32_e32 v18, v16, v10
	v_add_co_u32 v11, vcc_lo, v8, v11
	s_delay_alu instid0(VALU_DEP_3) | instskip(SKIP_1) | instid1(VALU_DEP_3)
	v_add_co_ci_u32_e32 v19, vcc_lo, v9, v14, vcc_lo
	v_xor_b32_e32 v20, v17, v10
	v_mul_hi_u32 v21, v18, v11
	v_xor_b32_e32 v10, s4, v10
	s_delay_alu instid0(VALU_DEP_4) | instskip(NEXT) | instid1(VALU_DEP_4)
	v_mad_u64_u32 v[8:9], null, v18, v19, 0
	v_mad_u64_u32 v[14:15], null, v20, v11, 0
	;; [unrolled: 1-line block ×3, first 2 shown]
	s_delay_alu instid0(VALU_DEP_3) | instskip(NEXT) | instid1(VALU_DEP_4)
	v_add_co_u32 v8, vcc_lo, v21, v8
	v_add_co_ci_u32_e32 v9, vcc_lo, 0, v9, vcc_lo
	s_delay_alu instid0(VALU_DEP_2) | instskip(NEXT) | instid1(VALU_DEP_2)
	v_add_co_u32 v8, vcc_lo, v8, v14
	v_add_co_ci_u32_e32 v8, vcc_lo, v9, v15, vcc_lo
	v_add_co_ci_u32_e32 v9, vcc_lo, 0, v17, vcc_lo
	s_delay_alu instid0(VALU_DEP_2) | instskip(NEXT) | instid1(VALU_DEP_2)
	v_add_co_u32 v11, vcc_lo, v8, v16
	v_add_co_ci_u32_e32 v14, vcc_lo, 0, v9, vcc_lo
	s_delay_alu instid0(VALU_DEP_2) | instskip(SKIP_1) | instid1(VALU_DEP_3)
	v_mul_lo_u32 v15, s7, v11
	v_mad_u64_u32 v[8:9], null, s6, v11, 0
	v_mul_lo_u32 v16, s6, v14
	s_delay_alu instid0(VALU_DEP_2) | instskip(NEXT) | instid1(VALU_DEP_2)
	v_sub_co_u32 v8, vcc_lo, v18, v8
	v_add3_u32 v9, v9, v16, v15
	s_delay_alu instid0(VALU_DEP_1) | instskip(NEXT) | instid1(VALU_DEP_1)
	v_sub_nc_u32_e32 v15, v20, v9
	v_subrev_co_ci_u32_e64 v15, s2, s7, v15, vcc_lo
	v_add_co_u32 v16, s2, v11, 2
	s_delay_alu instid0(VALU_DEP_1) | instskip(SKIP_3) | instid1(VALU_DEP_3)
	v_add_co_ci_u32_e64 v17, s2, 0, v14, s2
	v_sub_co_u32 v18, s2, v8, s6
	v_sub_co_ci_u32_e32 v9, vcc_lo, v20, v9, vcc_lo
	v_subrev_co_ci_u32_e64 v15, s2, 0, v15, s2
	v_cmp_le_u32_e32 vcc_lo, s6, v18
	s_delay_alu instid0(VALU_DEP_3) | instskip(SKIP_1) | instid1(VALU_DEP_4)
	v_cmp_eq_u32_e64 s2, s7, v9
	v_cndmask_b32_e64 v18, 0, -1, vcc_lo
	v_cmp_le_u32_e32 vcc_lo, s7, v15
	v_cndmask_b32_e64 v19, 0, -1, vcc_lo
	v_cmp_le_u32_e32 vcc_lo, s6, v8
	;; [unrolled: 2-line block ×3, first 2 shown]
	v_cndmask_b32_e64 v20, 0, -1, vcc_lo
	v_cmp_eq_u32_e32 vcc_lo, s7, v15
	s_delay_alu instid0(VALU_DEP_2) | instskip(SKIP_3) | instid1(VALU_DEP_3)
	v_cndmask_b32_e64 v8, v20, v8, s2
	v_cndmask_b32_e32 v15, v19, v18, vcc_lo
	v_add_co_u32 v18, vcc_lo, v11, 1
	v_add_co_ci_u32_e32 v19, vcc_lo, 0, v14, vcc_lo
	v_cmp_ne_u32_e32 vcc_lo, 0, v15
	s_delay_alu instid0(VALU_DEP_2) | instskip(NEXT) | instid1(VALU_DEP_4)
	v_cndmask_b32_e32 v9, v19, v17, vcc_lo
	v_cndmask_b32_e32 v15, v18, v16, vcc_lo
	v_cmp_ne_u32_e32 vcc_lo, 0, v8
	s_delay_alu instid0(VALU_DEP_2) | instskip(NEXT) | instid1(VALU_DEP_1)
	v_dual_cndmask_b32 v8, v14, v9 :: v_dual_cndmask_b32 v9, v11, v15
	v_xor_b32_e32 v11, v8, v10
	s_delay_alu instid0(VALU_DEP_2) | instskip(NEXT) | instid1(VALU_DEP_1)
	v_xor_b32_e32 v9, v9, v10
	v_sub_co_u32 v8, vcc_lo, v9, v10
	s_delay_alu instid0(VALU_DEP_3)
	v_sub_co_ci_u32_e32 v9, vcc_lo, v11, v10, vcc_lo
.LBB12_15:
	s_and_not1_saveexec_b32 s2, s11
	s_cbranch_execz .LBB12_17
; %bb.16:
	v_cvt_f32_u32_e32 v8, s10
	s_sub_i32 s4, 0, s10
	s_delay_alu instid0(VALU_DEP_1) | instskip(SKIP_2) | instid1(VALU_DEP_1)
	v_rcp_iflag_f32_e32 v8, v8
	s_waitcnt_depctr 0xfff
	v_mul_f32_e32 v8, 0x4f7ffffe, v8
	v_cvt_u32_f32_e32 v8, v8
	s_delay_alu instid0(VALU_DEP_1) | instskip(NEXT) | instid1(VALU_DEP_1)
	v_mul_lo_u32 v9, s4, v8
	v_mul_hi_u32 v9, v8, v9
	s_delay_alu instid0(VALU_DEP_1) | instskip(NEXT) | instid1(VALU_DEP_1)
	v_add_nc_u32_e32 v8, v8, v9
	v_mul_hi_u32 v8, v4, v8
	s_delay_alu instid0(VALU_DEP_1) | instskip(SKIP_1) | instid1(VALU_DEP_2)
	v_mul_lo_u32 v9, v8, s10
	v_add_nc_u32_e32 v10, 1, v8
	v_sub_nc_u32_e32 v9, v4, v9
	s_delay_alu instid0(VALU_DEP_1) | instskip(SKIP_1) | instid1(VALU_DEP_2)
	v_subrev_nc_u32_e32 v11, s10, v9
	v_cmp_le_u32_e32 vcc_lo, s10, v9
	v_dual_cndmask_b32 v9, v9, v11 :: v_dual_cndmask_b32 v8, v8, v10
	s_delay_alu instid0(VALU_DEP_1) | instskip(NEXT) | instid1(VALU_DEP_2)
	v_cmp_le_u32_e32 vcc_lo, s10, v9
	v_dual_mov_b32 v9, 0 :: v_dual_add_nc_u32 v10, 1, v8
	s_delay_alu instid0(VALU_DEP_1)
	v_cndmask_b32_e32 v8, v8, v10, vcc_lo
.LBB12_17:
	s_or_b32 exec_lo, exec_lo, s2
	s_delay_alu instid0(VALU_DEP_1) | instskip(NEXT) | instid1(VALU_DEP_2)
	v_mul_lo_u32 v14, s9, v8
	v_mul_lo_u32 v15, s10, v9
	v_mad_u64_u32 v[10:11], null, s10, v8, 0
	s_delay_alu instid0(VALU_DEP_1) | instskip(NEXT) | instid1(VALU_DEP_2)
	v_add3_u32 v11, v11, v15, v14
	v_sub_co_u32 v10, vcc_lo, v4, v10
	v_mov_b32_e32 v4, 0
	s_delay_alu instid0(VALU_DEP_3) | instskip(NEXT) | instid1(VALU_DEP_1)
	v_sub_co_ci_u32_e32 v11, vcc_lo, v5, v11, vcc_lo
	v_or_b32_e32 v5, s8, v11
	s_delay_alu instid0(VALU_DEP_1) | instskip(SKIP_1) | instid1(SALU_CYCLE_1)
	v_cmp_ne_u64_e32 vcc_lo, 0, v[4:5]
                                        ; implicit-def: $vgpr4_vgpr5
	s_and_saveexec_b32 s2, vcc_lo
	s_xor_b32 s9, exec_lo, s2
	s_cbranch_execz .LBB12_19
; %bb.18:
	s_ashr_i32 s4, s8, 31
	s_delay_alu instid0(SALU_CYCLE_1) | instskip(SKIP_2) | instid1(SALU_CYCLE_1)
	s_add_u32 s6, s3, s4
	s_mov_b32 s5, s4
	s_addc_u32 s7, s8, s4
	s_xor_b64 s[6:7], s[6:7], s[4:5]
	s_delay_alu instid0(SALU_CYCLE_1) | instskip(SKIP_3) | instid1(VALU_DEP_1)
	v_cvt_f32_u32_e32 v4, s6
	v_cvt_f32_u32_e32 v5, s7
	s_sub_u32 s2, 0, s6
	s_subb_u32 s5, 0, s7
	v_fmamk_f32 v4, v5, 0x4f800000, v4
	s_delay_alu instid0(VALU_DEP_1) | instskip(SKIP_2) | instid1(VALU_DEP_1)
	v_rcp_f32_e32 v4, v4
	s_waitcnt_depctr 0xfff
	v_mul_f32_e32 v4, 0x5f7ffffc, v4
	v_mul_f32_e32 v5, 0x2f800000, v4
	s_delay_alu instid0(VALU_DEP_1) | instskip(NEXT) | instid1(VALU_DEP_1)
	v_trunc_f32_e32 v5, v5
	v_fmamk_f32 v4, v5, 0xcf800000, v4
	v_cvt_u32_f32_e32 v5, v5
	s_delay_alu instid0(VALU_DEP_2) | instskip(NEXT) | instid1(VALU_DEP_2)
	v_cvt_u32_f32_e32 v4, v4
	v_mul_lo_u32 v14, s2, v5
	s_delay_alu instid0(VALU_DEP_2) | instskip(SKIP_1) | instid1(VALU_DEP_2)
	v_mul_hi_u32 v15, s2, v4
	v_mul_lo_u32 v16, s5, v4
	v_add_nc_u32_e32 v14, v15, v14
	v_mul_lo_u32 v15, s2, v4
	s_delay_alu instid0(VALU_DEP_2) | instskip(NEXT) | instid1(VALU_DEP_2)
	v_add_nc_u32_e32 v14, v14, v16
	v_mul_hi_u32 v16, v4, v15
	s_delay_alu instid0(VALU_DEP_2)
	v_mul_lo_u32 v17, v4, v14
	v_mul_hi_u32 v18, v4, v14
	v_mul_hi_u32 v19, v5, v15
	v_mul_lo_u32 v15, v5, v15
	v_mul_hi_u32 v20, v5, v14
	v_mul_lo_u32 v14, v5, v14
	v_add_co_u32 v16, vcc_lo, v16, v17
	v_add_co_ci_u32_e32 v17, vcc_lo, 0, v18, vcc_lo
	s_delay_alu instid0(VALU_DEP_2) | instskip(NEXT) | instid1(VALU_DEP_2)
	v_add_co_u32 v15, vcc_lo, v16, v15
	v_add_co_ci_u32_e32 v15, vcc_lo, v17, v19, vcc_lo
	v_add_co_ci_u32_e32 v16, vcc_lo, 0, v20, vcc_lo
	v_ashrrev_i32_e32 v19, 31, v11
	s_delay_alu instid0(VALU_DEP_3) | instskip(NEXT) | instid1(VALU_DEP_3)
	v_add_co_u32 v14, vcc_lo, v15, v14
	v_add_co_ci_u32_e32 v15, vcc_lo, 0, v16, vcc_lo
	s_delay_alu instid0(VALU_DEP_2) | instskip(NEXT) | instid1(VALU_DEP_2)
	v_add_co_u32 v4, vcc_lo, v4, v14
	v_add_co_ci_u32_e32 v5, vcc_lo, v5, v15, vcc_lo
	s_delay_alu instid0(VALU_DEP_2) | instskip(SKIP_1) | instid1(VALU_DEP_3)
	v_mul_hi_u32 v14, s2, v4
	v_mul_lo_u32 v16, s5, v4
	v_mul_lo_u32 v15, s2, v5
	s_delay_alu instid0(VALU_DEP_1) | instskip(SKIP_1) | instid1(VALU_DEP_2)
	v_add_nc_u32_e32 v14, v14, v15
	v_mul_lo_u32 v15, s2, v4
	v_add_nc_u32_e32 v14, v14, v16
	s_delay_alu instid0(VALU_DEP_2) | instskip(NEXT) | instid1(VALU_DEP_2)
	v_mul_hi_u32 v16, v4, v15
	v_mul_lo_u32 v17, v4, v14
	v_mul_hi_u32 v18, v4, v14
	v_mul_hi_u32 v20, v5, v15
	v_mul_lo_u32 v15, v5, v15
	v_mul_hi_u32 v21, v5, v14
	v_mul_lo_u32 v14, v5, v14
	v_add_co_u32 v16, vcc_lo, v16, v17
	v_add_co_ci_u32_e32 v17, vcc_lo, 0, v18, vcc_lo
	s_delay_alu instid0(VALU_DEP_2) | instskip(NEXT) | instid1(VALU_DEP_2)
	v_add_co_u32 v15, vcc_lo, v16, v15
	v_add_co_ci_u32_e32 v15, vcc_lo, v17, v20, vcc_lo
	v_add_co_ci_u32_e32 v16, vcc_lo, 0, v21, vcc_lo
	v_add_co_u32 v17, vcc_lo, v10, v19
	v_add_co_ci_u32_e32 v18, vcc_lo, v11, v19, vcc_lo
	s_delay_alu instid0(VALU_DEP_4) | instskip(NEXT) | instid1(VALU_DEP_4)
	v_add_co_u32 v14, vcc_lo, v15, v14
	v_add_co_ci_u32_e32 v15, vcc_lo, 0, v16, vcc_lo
	s_delay_alu instid0(VALU_DEP_4) | instskip(NEXT) | instid1(VALU_DEP_3)
	v_xor_b32_e32 v20, v17, v19
	v_add_co_u32 v16, vcc_lo, v4, v14
	s_delay_alu instid0(VALU_DEP_3) | instskip(SKIP_1) | instid1(VALU_DEP_3)
	v_add_co_ci_u32_e32 v21, vcc_lo, v5, v15, vcc_lo
	v_xor_b32_e32 v18, v18, v19
	v_mul_hi_u32 v22, v20, v16
	s_delay_alu instid0(VALU_DEP_3) | instskip(NEXT) | instid1(VALU_DEP_3)
	v_mad_u64_u32 v[4:5], null, v20, v21, 0
	v_mad_u64_u32 v[14:15], null, v18, v16, 0
	;; [unrolled: 1-line block ×3, first 2 shown]
	s_delay_alu instid0(VALU_DEP_3) | instskip(NEXT) | instid1(VALU_DEP_4)
	v_add_co_u32 v4, vcc_lo, v22, v4
	v_add_co_ci_u32_e32 v5, vcc_lo, 0, v5, vcc_lo
	s_delay_alu instid0(VALU_DEP_2) | instskip(NEXT) | instid1(VALU_DEP_2)
	v_add_co_u32 v4, vcc_lo, v4, v14
	v_add_co_ci_u32_e32 v4, vcc_lo, v5, v15, vcc_lo
	v_add_co_ci_u32_e32 v5, vcc_lo, 0, v17, vcc_lo
	s_delay_alu instid0(VALU_DEP_2) | instskip(NEXT) | instid1(VALU_DEP_2)
	v_add_co_u32 v14, vcc_lo, v4, v16
	v_add_co_ci_u32_e32 v15, vcc_lo, 0, v5, vcc_lo
	s_delay_alu instid0(VALU_DEP_2) | instskip(SKIP_1) | instid1(VALU_DEP_3)
	v_mul_lo_u32 v16, s7, v14
	v_mad_u64_u32 v[4:5], null, s6, v14, 0
	v_mul_lo_u32 v17, s6, v15
	s_delay_alu instid0(VALU_DEP_2) | instskip(NEXT) | instid1(VALU_DEP_2)
	v_sub_co_u32 v4, vcc_lo, v20, v4
	v_add3_u32 v5, v5, v17, v16
	s_delay_alu instid0(VALU_DEP_1) | instskip(NEXT) | instid1(VALU_DEP_1)
	v_sub_nc_u32_e32 v16, v18, v5
	v_subrev_co_ci_u32_e64 v16, s2, s7, v16, vcc_lo
	v_add_co_u32 v17, s2, v14, 2
	s_delay_alu instid0(VALU_DEP_1) | instskip(SKIP_3) | instid1(VALU_DEP_3)
	v_add_co_ci_u32_e64 v20, s2, 0, v15, s2
	v_sub_co_u32 v21, s2, v4, s6
	v_sub_co_ci_u32_e32 v5, vcc_lo, v18, v5, vcc_lo
	v_subrev_co_ci_u32_e64 v16, s2, 0, v16, s2
	v_cmp_le_u32_e32 vcc_lo, s6, v21
	s_delay_alu instid0(VALU_DEP_3) | instskip(SKIP_1) | instid1(VALU_DEP_4)
	v_cmp_eq_u32_e64 s2, s7, v5
	v_cndmask_b32_e64 v18, 0, -1, vcc_lo
	v_cmp_le_u32_e32 vcc_lo, s7, v16
	v_cndmask_b32_e64 v21, 0, -1, vcc_lo
	v_cmp_le_u32_e32 vcc_lo, s6, v4
	;; [unrolled: 2-line block ×3, first 2 shown]
	v_cndmask_b32_e64 v22, 0, -1, vcc_lo
	v_cmp_eq_u32_e32 vcc_lo, s7, v16
	s_delay_alu instid0(VALU_DEP_2) | instskip(SKIP_3) | instid1(VALU_DEP_3)
	v_cndmask_b32_e64 v4, v22, v4, s2
	v_cndmask_b32_e32 v16, v21, v18, vcc_lo
	v_add_co_u32 v18, vcc_lo, v14, 1
	v_add_co_ci_u32_e32 v21, vcc_lo, 0, v15, vcc_lo
	v_cmp_ne_u32_e32 vcc_lo, 0, v16
	s_delay_alu instid0(VALU_DEP_2) | instskip(SKIP_2) | instid1(VALU_DEP_3)
	v_dual_cndmask_b32 v5, v21, v20 :: v_dual_cndmask_b32 v16, v18, v17
	v_cmp_ne_u32_e32 vcc_lo, 0, v4
	v_xor_b32_e32 v17, s4, v19
	v_dual_cndmask_b32 v4, v15, v5 :: v_dual_cndmask_b32 v5, v14, v16
	s_delay_alu instid0(VALU_DEP_1) | instskip(NEXT) | instid1(VALU_DEP_2)
	v_xor_b32_e32 v14, v4, v17
	v_xor_b32_e32 v5, v5, v17
	s_delay_alu instid0(VALU_DEP_1) | instskip(NEXT) | instid1(VALU_DEP_3)
	v_sub_co_u32 v4, vcc_lo, v5, v17
	v_sub_co_ci_u32_e32 v5, vcc_lo, v14, v17, vcc_lo
.LBB12_19:
	s_and_not1_saveexec_b32 s2, s9
	s_cbranch_execz .LBB12_21
; %bb.20:
	v_cvt_f32_u32_e32 v4, s3
	s_sub_i32 s4, 0, s3
	s_delay_alu instid0(VALU_DEP_1) | instskip(SKIP_2) | instid1(VALU_DEP_1)
	v_rcp_iflag_f32_e32 v4, v4
	s_waitcnt_depctr 0xfff
	v_mul_f32_e32 v4, 0x4f7ffffe, v4
	v_cvt_u32_f32_e32 v4, v4
	s_delay_alu instid0(VALU_DEP_1) | instskip(NEXT) | instid1(VALU_DEP_1)
	v_mul_lo_u32 v5, s4, v4
	v_mul_hi_u32 v5, v4, v5
	s_delay_alu instid0(VALU_DEP_1) | instskip(NEXT) | instid1(VALU_DEP_1)
	v_add_nc_u32_e32 v4, v4, v5
	v_mul_hi_u32 v4, v10, v4
	s_delay_alu instid0(VALU_DEP_1) | instskip(SKIP_1) | instid1(VALU_DEP_2)
	v_mul_lo_u32 v5, v4, s3
	v_add_nc_u32_e32 v14, 1, v4
	v_sub_nc_u32_e32 v5, v10, v5
	s_delay_alu instid0(VALU_DEP_1) | instskip(SKIP_1) | instid1(VALU_DEP_2)
	v_subrev_nc_u32_e32 v15, s3, v5
	v_cmp_le_u32_e32 vcc_lo, s3, v5
	v_dual_cndmask_b32 v5, v5, v15 :: v_dual_cndmask_b32 v4, v4, v14
	s_delay_alu instid0(VALU_DEP_1) | instskip(NEXT) | instid1(VALU_DEP_2)
	v_cmp_le_u32_e32 vcc_lo, s3, v5
	v_dual_mov_b32 v5, 0 :: v_dual_add_nc_u32 v14, 1, v4
	s_delay_alu instid0(VALU_DEP_1)
	v_cndmask_b32_e32 v4, v4, v14, vcc_lo
.LBB12_21:
	s_or_b32 exec_lo, exec_lo, s2
	s_delay_alu instid0(VALU_DEP_1) | instskip(NEXT) | instid1(VALU_DEP_2)
	v_mul_lo_u32 v16, s8, v4
	v_mul_lo_u32 v17, s3, v5
	v_mad_u64_u32 v[14:15], null, s3, v4, 0
	s_delay_alu instid0(VALU_DEP_1) | instskip(NEXT) | instid1(VALU_DEP_2)
	v_add3_u32 v15, v15, v17, v16
	v_sub_co_u32 v14, vcc_lo, v10, v14
	v_mov_b32_e32 v10, 0
	s_delay_alu instid0(VALU_DEP_3) | instskip(NEXT) | instid1(VALU_DEP_1)
	v_sub_co_ci_u32_e32 v15, vcc_lo, v11, v15, vcc_lo
	v_or_b32_e32 v11, s41, v15
	s_delay_alu instid0(VALU_DEP_1) | instskip(SKIP_1) | instid1(SALU_CYCLE_1)
	v_cmp_ne_u64_e32 vcc_lo, 0, v[10:11]
                                        ; implicit-def: $vgpr10_vgpr11
	s_and_saveexec_b32 s2, vcc_lo
	s_xor_b32 s3, exec_lo, s2
	s_cbranch_execz .LBB12_23
; %bb.22:
	s_ashr_i32 s4, s41, 31
	s_delay_alu instid0(SALU_CYCLE_1) | instskip(SKIP_2) | instid1(SALU_CYCLE_1)
	s_add_u32 s6, s40, s4
	s_mov_b32 s5, s4
	s_addc_u32 s7, s41, s4
	s_xor_b64 s[6:7], s[6:7], s[4:5]
	s_delay_alu instid0(SALU_CYCLE_1) | instskip(SKIP_3) | instid1(VALU_DEP_1)
	v_cvt_f32_u32_e32 v10, s6
	v_cvt_f32_u32_e32 v11, s7
	s_sub_u32 s2, 0, s6
	s_subb_u32 s5, 0, s7
	v_fmamk_f32 v10, v11, 0x4f800000, v10
	s_delay_alu instid0(VALU_DEP_1) | instskip(SKIP_2) | instid1(VALU_DEP_1)
	v_rcp_f32_e32 v10, v10
	s_waitcnt_depctr 0xfff
	v_mul_f32_e32 v10, 0x5f7ffffc, v10
	v_mul_f32_e32 v11, 0x2f800000, v10
	s_delay_alu instid0(VALU_DEP_1) | instskip(NEXT) | instid1(VALU_DEP_1)
	v_trunc_f32_e32 v11, v11
	v_fmamk_f32 v10, v11, 0xcf800000, v10
	v_cvt_u32_f32_e32 v11, v11
	s_delay_alu instid0(VALU_DEP_2) | instskip(NEXT) | instid1(VALU_DEP_2)
	v_cvt_u32_f32_e32 v10, v10
	v_mul_lo_u32 v16, s2, v11
	s_delay_alu instid0(VALU_DEP_2) | instskip(SKIP_1) | instid1(VALU_DEP_2)
	v_mul_hi_u32 v17, s2, v10
	v_mul_lo_u32 v18, s5, v10
	v_add_nc_u32_e32 v16, v17, v16
	v_mul_lo_u32 v17, s2, v10
	s_delay_alu instid0(VALU_DEP_2) | instskip(NEXT) | instid1(VALU_DEP_2)
	v_add_nc_u32_e32 v16, v16, v18
	v_mul_hi_u32 v18, v10, v17
	s_delay_alu instid0(VALU_DEP_2)
	v_mul_lo_u32 v19, v10, v16
	v_mul_hi_u32 v20, v10, v16
	v_mul_hi_u32 v21, v11, v17
	v_mul_lo_u32 v17, v11, v17
	v_mul_hi_u32 v22, v11, v16
	v_mul_lo_u32 v16, v11, v16
	v_add_co_u32 v18, vcc_lo, v18, v19
	v_add_co_ci_u32_e32 v19, vcc_lo, 0, v20, vcc_lo
	s_delay_alu instid0(VALU_DEP_2) | instskip(NEXT) | instid1(VALU_DEP_2)
	v_add_co_u32 v17, vcc_lo, v18, v17
	v_add_co_ci_u32_e32 v17, vcc_lo, v19, v21, vcc_lo
	v_add_co_ci_u32_e32 v18, vcc_lo, 0, v22, vcc_lo
	v_ashrrev_i32_e32 v21, 31, v15
	s_delay_alu instid0(VALU_DEP_3) | instskip(NEXT) | instid1(VALU_DEP_3)
	v_add_co_u32 v16, vcc_lo, v17, v16
	v_add_co_ci_u32_e32 v17, vcc_lo, 0, v18, vcc_lo
	s_delay_alu instid0(VALU_DEP_2) | instskip(NEXT) | instid1(VALU_DEP_2)
	v_add_co_u32 v10, vcc_lo, v10, v16
	v_add_co_ci_u32_e32 v11, vcc_lo, v11, v17, vcc_lo
	s_delay_alu instid0(VALU_DEP_2) | instskip(SKIP_1) | instid1(VALU_DEP_3)
	v_mul_hi_u32 v16, s2, v10
	v_mul_lo_u32 v18, s5, v10
	v_mul_lo_u32 v17, s2, v11
	s_delay_alu instid0(VALU_DEP_1) | instskip(SKIP_1) | instid1(VALU_DEP_2)
	v_add_nc_u32_e32 v16, v16, v17
	v_mul_lo_u32 v17, s2, v10
	v_add_nc_u32_e32 v16, v16, v18
	s_delay_alu instid0(VALU_DEP_2) | instskip(NEXT) | instid1(VALU_DEP_2)
	v_mul_hi_u32 v18, v10, v17
	v_mul_lo_u32 v19, v10, v16
	v_mul_hi_u32 v20, v10, v16
	v_mul_hi_u32 v22, v11, v17
	v_mul_lo_u32 v17, v11, v17
	v_mul_hi_u32 v23, v11, v16
	v_mul_lo_u32 v16, v11, v16
	v_add_co_u32 v18, vcc_lo, v18, v19
	v_add_co_ci_u32_e32 v19, vcc_lo, 0, v20, vcc_lo
	s_delay_alu instid0(VALU_DEP_2) | instskip(NEXT) | instid1(VALU_DEP_2)
	v_add_co_u32 v17, vcc_lo, v18, v17
	v_add_co_ci_u32_e32 v17, vcc_lo, v19, v22, vcc_lo
	v_add_co_ci_u32_e32 v18, vcc_lo, 0, v23, vcc_lo
	v_add_co_u32 v19, vcc_lo, v14, v21
	v_add_co_ci_u32_e32 v20, vcc_lo, v15, v21, vcc_lo
	s_delay_alu instid0(VALU_DEP_4) | instskip(NEXT) | instid1(VALU_DEP_4)
	v_add_co_u32 v16, vcc_lo, v17, v16
	v_add_co_ci_u32_e32 v17, vcc_lo, 0, v18, vcc_lo
	s_delay_alu instid0(VALU_DEP_4) | instskip(NEXT) | instid1(VALU_DEP_3)
	v_xor_b32_e32 v22, v19, v21
	v_add_co_u32 v18, vcc_lo, v10, v16
	s_delay_alu instid0(VALU_DEP_3) | instskip(SKIP_1) | instid1(VALU_DEP_3)
	v_add_co_ci_u32_e32 v23, vcc_lo, v11, v17, vcc_lo
	v_xor_b32_e32 v20, v20, v21
	v_mul_hi_u32 v24, v22, v18
	s_delay_alu instid0(VALU_DEP_3) | instskip(NEXT) | instid1(VALU_DEP_3)
	v_mad_u64_u32 v[10:11], null, v22, v23, 0
	v_mad_u64_u32 v[16:17], null, v20, v18, 0
	;; [unrolled: 1-line block ×3, first 2 shown]
	s_delay_alu instid0(VALU_DEP_3) | instskip(NEXT) | instid1(VALU_DEP_4)
	v_add_co_u32 v10, vcc_lo, v24, v10
	v_add_co_ci_u32_e32 v11, vcc_lo, 0, v11, vcc_lo
	s_delay_alu instid0(VALU_DEP_2) | instskip(NEXT) | instid1(VALU_DEP_2)
	v_add_co_u32 v10, vcc_lo, v10, v16
	v_add_co_ci_u32_e32 v10, vcc_lo, v11, v17, vcc_lo
	v_add_co_ci_u32_e32 v11, vcc_lo, 0, v19, vcc_lo
	s_delay_alu instid0(VALU_DEP_2) | instskip(NEXT) | instid1(VALU_DEP_2)
	v_add_co_u32 v16, vcc_lo, v10, v18
	v_add_co_ci_u32_e32 v17, vcc_lo, 0, v11, vcc_lo
	s_delay_alu instid0(VALU_DEP_2) | instskip(SKIP_1) | instid1(VALU_DEP_3)
	v_mul_lo_u32 v18, s7, v16
	v_mad_u64_u32 v[10:11], null, s6, v16, 0
	v_mul_lo_u32 v19, s6, v17
	s_delay_alu instid0(VALU_DEP_2) | instskip(NEXT) | instid1(VALU_DEP_2)
	v_sub_co_u32 v10, vcc_lo, v22, v10
	v_add3_u32 v11, v11, v19, v18
	s_delay_alu instid0(VALU_DEP_1) | instskip(NEXT) | instid1(VALU_DEP_1)
	v_sub_nc_u32_e32 v18, v20, v11
	v_subrev_co_ci_u32_e64 v18, s2, s7, v18, vcc_lo
	v_add_co_u32 v19, s2, v16, 2
	s_delay_alu instid0(VALU_DEP_1) | instskip(SKIP_3) | instid1(VALU_DEP_3)
	v_add_co_ci_u32_e64 v22, s2, 0, v17, s2
	v_sub_co_u32 v23, s2, v10, s6
	v_sub_co_ci_u32_e32 v11, vcc_lo, v20, v11, vcc_lo
	v_subrev_co_ci_u32_e64 v18, s2, 0, v18, s2
	v_cmp_le_u32_e32 vcc_lo, s6, v23
	s_delay_alu instid0(VALU_DEP_3) | instskip(SKIP_1) | instid1(VALU_DEP_4)
	v_cmp_eq_u32_e64 s2, s7, v11
	v_cndmask_b32_e64 v20, 0, -1, vcc_lo
	v_cmp_le_u32_e32 vcc_lo, s7, v18
	v_cndmask_b32_e64 v23, 0, -1, vcc_lo
	v_cmp_le_u32_e32 vcc_lo, s6, v10
	;; [unrolled: 2-line block ×3, first 2 shown]
	v_cndmask_b32_e64 v24, 0, -1, vcc_lo
	v_cmp_eq_u32_e32 vcc_lo, s7, v18
	s_delay_alu instid0(VALU_DEP_2) | instskip(SKIP_3) | instid1(VALU_DEP_3)
	v_cndmask_b32_e64 v10, v24, v10, s2
	v_cndmask_b32_e32 v18, v23, v20, vcc_lo
	v_add_co_u32 v20, vcc_lo, v16, 1
	v_add_co_ci_u32_e32 v23, vcc_lo, 0, v17, vcc_lo
	v_cmp_ne_u32_e32 vcc_lo, 0, v18
	s_delay_alu instid0(VALU_DEP_2) | instskip(SKIP_2) | instid1(VALU_DEP_3)
	v_dual_cndmask_b32 v11, v23, v22 :: v_dual_cndmask_b32 v18, v20, v19
	v_cmp_ne_u32_e32 vcc_lo, 0, v10
	v_xor_b32_e32 v19, s4, v21
	v_dual_cndmask_b32 v10, v17, v11 :: v_dual_cndmask_b32 v11, v16, v18
	s_delay_alu instid0(VALU_DEP_1) | instskip(NEXT) | instid1(VALU_DEP_2)
	v_xor_b32_e32 v16, v10, v19
	v_xor_b32_e32 v11, v11, v19
	s_delay_alu instid0(VALU_DEP_1) | instskip(NEXT) | instid1(VALU_DEP_3)
	v_sub_co_u32 v10, vcc_lo, v11, v19
	v_sub_co_ci_u32_e32 v11, vcc_lo, v16, v19, vcc_lo
.LBB12_23:
	s_and_not1_saveexec_b32 s2, s3
	s_cbranch_execz .LBB12_25
; %bb.24:
	v_cvt_f32_u32_e32 v10, s40
	s_sub_i32 s3, 0, s40
	s_delay_alu instid0(VALU_DEP_1) | instskip(SKIP_2) | instid1(VALU_DEP_1)
	v_rcp_iflag_f32_e32 v10, v10
	s_waitcnt_depctr 0xfff
	v_mul_f32_e32 v10, 0x4f7ffffe, v10
	v_cvt_u32_f32_e32 v10, v10
	s_delay_alu instid0(VALU_DEP_1) | instskip(NEXT) | instid1(VALU_DEP_1)
	v_mul_lo_u32 v11, s3, v10
	v_mul_hi_u32 v11, v10, v11
	s_delay_alu instid0(VALU_DEP_1) | instskip(NEXT) | instid1(VALU_DEP_1)
	v_add_nc_u32_e32 v10, v10, v11
	v_mul_hi_u32 v10, v14, v10
	s_delay_alu instid0(VALU_DEP_1) | instskip(SKIP_1) | instid1(VALU_DEP_2)
	v_mul_lo_u32 v11, v10, s40
	v_add_nc_u32_e32 v16, 1, v10
	v_sub_nc_u32_e32 v11, v14, v11
	s_delay_alu instid0(VALU_DEP_1) | instskip(SKIP_1) | instid1(VALU_DEP_2)
	v_subrev_nc_u32_e32 v17, s40, v11
	v_cmp_le_u32_e32 vcc_lo, s40, v11
	v_dual_cndmask_b32 v11, v11, v17 :: v_dual_cndmask_b32 v10, v10, v16
	s_delay_alu instid0(VALU_DEP_1) | instskip(NEXT) | instid1(VALU_DEP_2)
	v_cmp_le_u32_e32 vcc_lo, s40, v11
	v_dual_mov_b32 v11, 0 :: v_dual_add_nc_u32 v16, 1, v10
	s_delay_alu instid0(VALU_DEP_1)
	v_cndmask_b32_e32 v10, v10, v16, vcc_lo
.LBB12_25:
	s_or_b32 exec_lo, exec_lo, s2
	v_mul_lo_u32 v18, v7, s22
	v_mul_lo_u32 v19, v6, s23
	v_mad_u64_u32 v[16:17], null, v6, s22, 0
	v_mul_lo_u32 v7, v7, s30
	v_mul_lo_u32 v3, v3, s36
	s_load_b64 s[0:1], s[0:1], 0x80
	s_delay_alu instid0(VALU_DEP_3) | instskip(NEXT) | instid1(VALU_DEP_4)
	v_add3_u32 v17, v17, v19, v18
	v_sub_co_u32 v16, vcc_lo, v12, v16
	s_delay_alu instid0(VALU_DEP_2) | instskip(NEXT) | instid1(VALU_DEP_2)
	v_sub_co_ci_u32_e32 v17, vcc_lo, v13, v17, vcc_lo
	v_mul_lo_u32 v18, v16, s29
	v_mad_u64_u32 v[12:13], null, v16, s28, s[16:17]
	s_delay_alu instid0(VALU_DEP_3) | instskip(NEXT) | instid1(VALU_DEP_1)
	v_mul_lo_u32 v16, v17, s28
	v_add3_u32 v13, v16, v13, v18
	v_mul_lo_u32 v18, v6, s31
	s_delay_alu instid0(VALU_DEP_2) | instskip(SKIP_1) | instid1(VALU_DEP_2)
	v_mad_u64_u32 v[16:17], null, v6, s30, v[12:13]
	v_mul_lo_u32 v12, v2, s37
	v_add3_u32 v17, v7, v17, v18
	s_delay_alu instid0(VALU_DEP_1) | instskip(NEXT) | instid1(VALU_DEP_1)
	v_mad_u64_u32 v[6:7], null, v2, s36, v[16:17]
	v_add3_u32 v7, v3, v7, v12
	v_mul_lo_u32 v12, v0, s39
	s_delay_alu instid0(VALU_DEP_2) | instskip(SKIP_1) | instid1(VALU_DEP_1)
	v_mad_u64_u32 v[2:3], null, v0, s38, v[6:7]
	v_mul_lo_u32 v0, v1, s38
	v_add3_u32 v3, v0, v3, v12
	v_mad_u64_u32 v[0:1], null, v10, s40, 0
	global_load_b32 v6, v[2:3], off
	v_mul_lo_u32 v2, v11, s40
	v_mul_lo_u32 v3, v10, s41
	s_delay_alu instid0(VALU_DEP_1) | instskip(SKIP_1) | instid1(VALU_DEP_2)
	v_add3_u32 v1, v1, v3, v2
	v_sub_co_u32 v2, vcc_lo, v14, v0
	v_sub_co_ci_u32_e32 v0, vcc_lo, v15, v1, vcc_lo
	s_delay_alu instid0(VALU_DEP_2) | instskip(NEXT) | instid1(VALU_DEP_2)
	v_mul_lo_u32 v3, v2, s47
	v_mul_lo_u32 v7, v0, s46
	v_mad_u64_u32 v[0:1], null, v2, s46, s[18:19]
	s_delay_alu instid0(VALU_DEP_1) | instskip(NEXT) | instid1(VALU_DEP_1)
	v_add3_u32 v1, v7, v1, v3
	v_mad_u64_u32 v[2:3], null, v10, s48, v[0:1]
	v_mul_lo_u32 v0, v10, s49
	v_mul_lo_u32 v1, v11, s48
	s_delay_alu instid0(VALU_DEP_1) | instskip(NEXT) | instid1(VALU_DEP_1)
	v_add3_u32 v3, v1, v3, v0
	v_mad_u64_u32 v[0:1], null, v4, s50, v[2:3]
	v_mul_lo_u32 v2, v4, s51
	v_mul_lo_u32 v3, v5, s50
	s_delay_alu instid0(VALU_DEP_1) | instskip(SKIP_1) | instid1(VALU_DEP_1)
	v_add3_u32 v1, v3, v1, v2
	s_waitcnt lgkmcnt(0)
	v_mad_u64_u32 v[2:3], null, v8, s0, v[0:1]
	v_mul_lo_u32 v0, v8, s1
	v_mul_lo_u32 v1, v9, s0
	s_delay_alu instid0(VALU_DEP_1)
	v_add3_u32 v3, v1, v3, v0
	s_waitcnt vmcnt(0)
	global_store_b32 v[2:3], v6, off
.LBB12_26:
	s_nop 0
	s_sendmsg sendmsg(MSG_DEALLOC_VGPRS)
	s_endpgm
	.section	.rodata,"a",@progbits
	.p2align	6, 0x0
	.amdhsa_kernel _ZL10cpy_scalarIXadL_ZL12cpy_1_scalarIffEvPKcPcEEEvS2_S3_lllllllllllllll
		.amdhsa_group_segment_fixed_size 0
		.amdhsa_private_segment_fixed_size 0
		.amdhsa_kernarg_size 392
		.amdhsa_user_sgpr_count 15
		.amdhsa_user_sgpr_dispatch_ptr 0
		.amdhsa_user_sgpr_queue_ptr 0
		.amdhsa_user_sgpr_kernarg_segment_ptr 1
		.amdhsa_user_sgpr_dispatch_id 0
		.amdhsa_user_sgpr_private_segment_size 0
		.amdhsa_wavefront_size32 1
		.amdhsa_uses_dynamic_stack 0
		.amdhsa_enable_private_segment 0
		.amdhsa_system_sgpr_workgroup_id_x 1
		.amdhsa_system_sgpr_workgroup_id_y 0
		.amdhsa_system_sgpr_workgroup_id_z 0
		.amdhsa_system_sgpr_workgroup_info 0
		.amdhsa_system_vgpr_workitem_id 0
		.amdhsa_next_free_vgpr 25
		.amdhsa_next_free_sgpr 52
		.amdhsa_reserve_vcc 1
		.amdhsa_float_round_mode_32 0
		.amdhsa_float_round_mode_16_64 0
		.amdhsa_float_denorm_mode_32 3
		.amdhsa_float_denorm_mode_16_64 3
		.amdhsa_dx10_clamp 1
		.amdhsa_ieee_mode 1
		.amdhsa_fp16_overflow 0
		.amdhsa_workgroup_processor_mode 1
		.amdhsa_memory_ordered 1
		.amdhsa_forward_progress 0
		.amdhsa_shared_vgpr_count 0
		.amdhsa_exception_fp_ieee_invalid_op 0
		.amdhsa_exception_fp_denorm_src 0
		.amdhsa_exception_fp_ieee_div_zero 0
		.amdhsa_exception_fp_ieee_overflow 0
		.amdhsa_exception_fp_ieee_underflow 0
		.amdhsa_exception_fp_ieee_inexact 0
		.amdhsa_exception_int_div_zero 0
	.end_amdhsa_kernel
	.section	.text._ZL10cpy_scalarIXadL_ZL12cpy_1_scalarIffEvPKcPcEEEvS2_S3_lllllllllllllll,"axG",@progbits,_ZL10cpy_scalarIXadL_ZL12cpy_1_scalarIffEvPKcPcEEEvS2_S3_lllllllllllllll,comdat
.Lfunc_end12:
	.size	_ZL10cpy_scalarIXadL_ZL12cpy_1_scalarIffEvPKcPcEEEvS2_S3_lllllllllllllll, .Lfunc_end12-_ZL10cpy_scalarIXadL_ZL12cpy_1_scalarIffEvPKcPcEEEvS2_S3_lllllllllllllll
                                        ; -- End function
	.section	.AMDGPU.csdata,"",@progbits
; Kernel info:
; codeLenInByte = 6828
; NumSgprs: 54
; NumVgprs: 25
; ScratchSize: 0
; MemoryBound: 0
; FloatMode: 240
; IeeeMode: 1
; LDSByteSize: 0 bytes/workgroup (compile time only)
; SGPRBlocks: 6
; VGPRBlocks: 3
; NumSGPRsForWavesPerEU: 54
; NumVGPRsForWavesPerEU: 25
; Occupancy: 16
; WaveLimiterHint : 0
; COMPUTE_PGM_RSRC2:SCRATCH_EN: 0
; COMPUTE_PGM_RSRC2:USER_SGPR: 15
; COMPUTE_PGM_RSRC2:TRAP_HANDLER: 0
; COMPUTE_PGM_RSRC2:TGID_X_EN: 1
; COMPUTE_PGM_RSRC2:TGID_Y_EN: 0
; COMPUTE_PGM_RSRC2:TGID_Z_EN: 0
; COMPUTE_PGM_RSRC2:TIDIG_COMP_CNT: 0
	.section	.text._ZL21cpy_scalar_contiguousIf14__hip_bfloat16EvPKcPcl,"axG",@progbits,_ZL21cpy_scalar_contiguousIf14__hip_bfloat16EvPKcPcl,comdat
	.globl	_ZL21cpy_scalar_contiguousIf14__hip_bfloat16EvPKcPcl ; -- Begin function _ZL21cpy_scalar_contiguousIf14__hip_bfloat16EvPKcPcl
	.p2align	8
	.type	_ZL21cpy_scalar_contiguousIf14__hip_bfloat16EvPKcPcl,@function
_ZL21cpy_scalar_contiguousIf14__hip_bfloat16EvPKcPcl: ; @_ZL21cpy_scalar_contiguousIf14__hip_bfloat16EvPKcPcl
; %bb.0:
	s_clause 0x1
	s_load_b32 s4, s[0:1], 0x24
	s_load_b64 s[2:3], s[0:1], 0x10
	v_mov_b32_e32 v1, 0
	s_waitcnt lgkmcnt(0)
	s_and_b32 s4, s4, 0xffff
	s_delay_alu instid0(VALU_DEP_1) | instid1(SALU_CYCLE_1)
	v_mad_u64_u32 v[2:3], null, s4, s15, v[0:1]
	s_delay_alu instid0(VALU_DEP_1)
	v_cmp_gt_i64_e32 vcc_lo, s[2:3], v[2:3]
	s_and_saveexec_b32 s2, vcc_lo
	s_cbranch_execz .LBB13_6
; %bb.1:
	s_load_b128 s[0:3], s[0:1], 0x0
	v_lshlrev_b64 v[0:1], 2, v[2:3]
	s_waitcnt lgkmcnt(0)
	s_delay_alu instid0(VALU_DEP_1) | instskip(NEXT) | instid1(VALU_DEP_2)
	v_add_co_u32 v0, vcc_lo, s0, v0
	v_add_co_ci_u32_e32 v1, vcc_lo, s1, v1, vcc_lo
	global_load_b32 v1, v[0:1], off
	s_waitcnt vmcnt(0)
	v_and_b32_e32 v0, 0x7f800000, v1
	s_delay_alu instid0(VALU_DEP_1) | instskip(SKIP_1) | instid1(SALU_CYCLE_1)
	v_cmp_ne_u32_e32 vcc_lo, 0x7f800000, v0
                                        ; implicit-def: $vgpr0
	s_and_saveexec_b32 s0, vcc_lo
	s_xor_b32 s0, exec_lo, s0
; %bb.2:
	v_bfe_u32 v0, v1, 16, 1
	s_delay_alu instid0(VALU_DEP_1)
	v_add3_u32 v0, v1, v0, 0x7fff
                                        ; implicit-def: $vgpr1
; %bb.3:
	s_and_not1_saveexec_b32 s0, s0
; %bb.4:
	v_and_b32_e32 v0, 0xffff, v1
	v_or_b32_e32 v4, 0x10000, v1
	s_delay_alu instid0(VALU_DEP_2) | instskip(NEXT) | instid1(VALU_DEP_2)
	v_cmp_eq_u32_e32 vcc_lo, 0, v0
	v_cndmask_b32_e32 v0, v4, v1, vcc_lo
; %bb.5:
	s_or_b32 exec_lo, exec_lo, s0
	v_lshlrev_b64 v[1:2], 1, v[2:3]
	s_delay_alu instid0(VALU_DEP_1) | instskip(NEXT) | instid1(VALU_DEP_2)
	v_add_co_u32 v1, vcc_lo, s2, v1
	v_add_co_ci_u32_e32 v2, vcc_lo, s3, v2, vcc_lo
	global_store_d16_hi_b16 v[1:2], v0, off
.LBB13_6:
	s_nop 0
	s_sendmsg sendmsg(MSG_DEALLOC_VGPRS)
	s_endpgm
	.section	.rodata,"a",@progbits
	.p2align	6, 0x0
	.amdhsa_kernel _ZL21cpy_scalar_contiguousIf14__hip_bfloat16EvPKcPcl
		.amdhsa_group_segment_fixed_size 0
		.amdhsa_private_segment_fixed_size 0
		.amdhsa_kernarg_size 280
		.amdhsa_user_sgpr_count 15
		.amdhsa_user_sgpr_dispatch_ptr 0
		.amdhsa_user_sgpr_queue_ptr 0
		.amdhsa_user_sgpr_kernarg_segment_ptr 1
		.amdhsa_user_sgpr_dispatch_id 0
		.amdhsa_user_sgpr_private_segment_size 0
		.amdhsa_wavefront_size32 1
		.amdhsa_uses_dynamic_stack 0
		.amdhsa_enable_private_segment 0
		.amdhsa_system_sgpr_workgroup_id_x 1
		.amdhsa_system_sgpr_workgroup_id_y 0
		.amdhsa_system_sgpr_workgroup_id_z 0
		.amdhsa_system_sgpr_workgroup_info 0
		.amdhsa_system_vgpr_workitem_id 0
		.amdhsa_next_free_vgpr 5
		.amdhsa_next_free_sgpr 16
		.amdhsa_reserve_vcc 1
		.amdhsa_float_round_mode_32 0
		.amdhsa_float_round_mode_16_64 0
		.amdhsa_float_denorm_mode_32 3
		.amdhsa_float_denorm_mode_16_64 3
		.amdhsa_dx10_clamp 1
		.amdhsa_ieee_mode 1
		.amdhsa_fp16_overflow 0
		.amdhsa_workgroup_processor_mode 1
		.amdhsa_memory_ordered 1
		.amdhsa_forward_progress 0
		.amdhsa_shared_vgpr_count 0
		.amdhsa_exception_fp_ieee_invalid_op 0
		.amdhsa_exception_fp_denorm_src 0
		.amdhsa_exception_fp_ieee_div_zero 0
		.amdhsa_exception_fp_ieee_overflow 0
		.amdhsa_exception_fp_ieee_underflow 0
		.amdhsa_exception_fp_ieee_inexact 0
		.amdhsa_exception_int_div_zero 0
	.end_amdhsa_kernel
	.section	.text._ZL21cpy_scalar_contiguousIf14__hip_bfloat16EvPKcPcl,"axG",@progbits,_ZL21cpy_scalar_contiguousIf14__hip_bfloat16EvPKcPcl,comdat
.Lfunc_end13:
	.size	_ZL21cpy_scalar_contiguousIf14__hip_bfloat16EvPKcPcl, .Lfunc_end13-_ZL21cpy_scalar_contiguousIf14__hip_bfloat16EvPKcPcl
                                        ; -- End function
	.section	.AMDGPU.csdata,"",@progbits
; Kernel info:
; codeLenInByte = 244
; NumSgprs: 18
; NumVgprs: 5
; ScratchSize: 0
; MemoryBound: 0
; FloatMode: 240
; IeeeMode: 1
; LDSByteSize: 0 bytes/workgroup (compile time only)
; SGPRBlocks: 2
; VGPRBlocks: 0
; NumSGPRsForWavesPerEU: 18
; NumVGPRsForWavesPerEU: 5
; Occupancy: 16
; WaveLimiterHint : 0
; COMPUTE_PGM_RSRC2:SCRATCH_EN: 0
; COMPUTE_PGM_RSRC2:USER_SGPR: 15
; COMPUTE_PGM_RSRC2:TRAP_HANDLER: 0
; COMPUTE_PGM_RSRC2:TGID_X_EN: 1
; COMPUTE_PGM_RSRC2:TGID_Y_EN: 0
; COMPUTE_PGM_RSRC2:TGID_Z_EN: 0
; COMPUTE_PGM_RSRC2:TIDIG_COMP_CNT: 0
	.section	.text._ZL20cpy_scalar_transposeI14__hip_bfloat16EvPKcPclllllllllllllll,"axG",@progbits,_ZL20cpy_scalar_transposeI14__hip_bfloat16EvPKcPclllllllllllllll,comdat
	.globl	_ZL20cpy_scalar_transposeI14__hip_bfloat16EvPKcPclllllllllllllll ; -- Begin function _ZL20cpy_scalar_transposeI14__hip_bfloat16EvPKcPclllllllllllllll
	.p2align	8
	.type	_ZL20cpy_scalar_transposeI14__hip_bfloat16EvPKcPclllllllllllllll,@function
_ZL20cpy_scalar_transposeI14__hip_bfloat16EvPKcPclllllllllllllll: ; @_ZL20cpy_scalar_transposeI14__hip_bfloat16EvPKcPclllllllllllllll
; %bb.0:
	s_clause 0x1
	s_load_b256 s[4:11], s[0:1], 0x0
	s_load_b64 s[16:17], s[0:1], 0x20
	s_waitcnt lgkmcnt(0)
	s_mul_i32 s0, s16, s11
	s_mul_hi_u32 s1, s16, s10
	s_mul_i32 s2, s17, s10
	s_add_i32 s0, s1, s0
	s_mul_i32 s18, s16, s10
	s_add_i32 s19, s0, s2
	s_delay_alu instid0(SALU_CYCLE_1) | instskip(SKIP_1) | instid1(SALU_CYCLE_1)
	s_or_b64 s[2:3], s[8:9], s[18:19]
	s_mov_b32 s2, 0
	s_cmp_lg_u64 s[2:3], 0
	s_cbranch_scc0 .LBB14_162
; %bb.1:
	s_ashr_i32 s20, s19, 31
	s_delay_alu instid0(SALU_CYCLE_1) | instskip(SKIP_2) | instid1(SALU_CYCLE_1)
	s_add_u32 s0, s18, s20
	s_mov_b32 s21, s20
	s_addc_u32 s1, s19, s20
	s_xor_b64 s[0:1], s[0:1], s[20:21]
	s_delay_alu instid0(SALU_CYCLE_1) | instskip(SKIP_3) | instid1(VALU_DEP_1)
	v_cvt_f32_u32_e32 v1, s0
	v_cvt_f32_u32_e32 v2, s1
	s_sub_u32 s22, 0, s0
	s_subb_u32 s23, 0, s1
	v_fmamk_f32 v1, v2, 0x4f800000, v1
	s_delay_alu instid0(VALU_DEP_1) | instskip(SKIP_2) | instid1(VALU_DEP_1)
	v_rcp_f32_e32 v1, v1
	s_waitcnt_depctr 0xfff
	v_mul_f32_e32 v1, 0x5f7ffffc, v1
	v_mul_f32_e32 v2, 0x2f800000, v1
	s_delay_alu instid0(VALU_DEP_1) | instskip(NEXT) | instid1(VALU_DEP_1)
	v_trunc_f32_e32 v2, v2
	v_fmamk_f32 v1, v2, 0xcf800000, v1
	v_cvt_u32_f32_e32 v2, v2
	s_delay_alu instid0(VALU_DEP_2) | instskip(NEXT) | instid1(VALU_DEP_2)
	v_cvt_u32_f32_e32 v1, v1
	v_readfirstlane_b32 s3, v2
	s_delay_alu instid0(VALU_DEP_2) | instskip(NEXT) | instid1(VALU_DEP_2)
	v_readfirstlane_b32 s12, v1
	s_mul_i32 s24, s22, s3
	s_delay_alu instid0(VALU_DEP_1)
	s_mul_hi_u32 s26, s22, s12
	s_mul_i32 s25, s23, s12
	s_add_i32 s24, s26, s24
	s_mul_i32 s27, s22, s12
	s_add_i32 s24, s24, s25
	s_mul_hi_u32 s26, s12, s27
	s_mul_hi_u32 s28, s3, s27
	s_mul_i32 s25, s3, s27
	s_mul_hi_u32 s27, s12, s24
	s_mul_i32 s12, s12, s24
	s_mul_hi_u32 s29, s3, s24
	s_add_u32 s12, s26, s12
	s_addc_u32 s26, 0, s27
	s_add_u32 s12, s12, s25
	s_mul_i32 s24, s3, s24
	s_addc_u32 s12, s26, s28
	s_addc_u32 s25, s29, 0
	s_add_u32 s12, s12, s24
	s_addc_u32 s24, 0, s25
	v_add_co_u32 v1, s12, v1, s12
	s_delay_alu instid0(VALU_DEP_1) | instskip(SKIP_1) | instid1(VALU_DEP_1)
	s_cmp_lg_u32 s12, 0
	s_addc_u32 s3, s3, s24
	v_readfirstlane_b32 s12, v1
	s_mul_i32 s24, s22, s3
	s_delay_alu instid0(VALU_DEP_1)
	s_mul_hi_u32 s25, s22, s12
	s_mul_i32 s23, s23, s12
	s_add_i32 s24, s25, s24
	s_mul_i32 s22, s22, s12
	s_add_i32 s24, s24, s23
	s_mul_hi_u32 s25, s3, s22
	s_mul_i32 s26, s3, s22
	s_mul_hi_u32 s22, s12, s22
	s_mul_hi_u32 s27, s12, s24
	s_mul_i32 s12, s12, s24
	s_mul_hi_u32 s23, s3, s24
	s_add_u32 s12, s22, s12
	s_addc_u32 s22, 0, s27
	s_add_u32 s12, s12, s26
	s_mul_i32 s24, s3, s24
	s_addc_u32 s12, s22, s25
	s_addc_u32 s22, s23, 0
	s_add_u32 s12, s12, s24
	s_addc_u32 s22, 0, s22
	v_add_co_u32 v1, s12, v1, s12
	s_delay_alu instid0(VALU_DEP_1) | instskip(SKIP_2) | instid1(SALU_CYCLE_1)
	s_cmp_lg_u32 s12, 0
	s_addc_u32 s3, s3, s22
	s_ashr_i32 s22, s9, 31
	s_add_u32 s24, s8, s22
	s_addc_u32 s25, s9, s22
	v_readfirstlane_b32 s9, v1
	s_mov_b32 s23, s22
	s_delay_alu instid0(SALU_CYCLE_1) | instskip(NEXT) | instid1(SALU_CYCLE_1)
	s_xor_b64 s[24:25], s[24:25], s[22:23]
	s_mul_i32 s26, s24, s3
	s_delay_alu instid0(VALU_DEP_1)
	s_mul_hi_u32 s27, s24, s9
	s_mul_hi_u32 s12, s24, s3
	;; [unrolled: 1-line block ×3, first 2 shown]
	s_mul_i32 s9, s25, s9
	s_add_u32 s26, s27, s26
	s_addc_u32 s12, 0, s12
	s_mul_hi_u32 s28, s25, s3
	s_add_u32 s9, s26, s9
	s_mul_i32 s3, s25, s3
	s_addc_u32 s9, s12, s29
	s_addc_u32 s12, s28, 0
	s_add_u32 s3, s9, s3
	s_addc_u32 s9, 0, s12
	s_mul_i32 s28, s0, s3
	s_mul_hi_u32 s12, s0, s3
	s_mul_i32 s27, s0, s9
	v_sub_co_u32 v1, s24, s24, s28
	s_mul_i32 s26, s1, s3
	s_add_i32 s12, s12, s27
	s_delay_alu instid0(SALU_CYCLE_1) | instskip(NEXT) | instid1(VALU_DEP_1)
	s_add_i32 s12, s12, s26
	v_sub_co_u32 v2, s27, v1, s0
	s_sub_i32 s26, s25, s12
	s_cmp_lg_u32 s24, 0
	s_subb_u32 s26, s26, s1
	s_cmp_lg_u32 s27, 0
	v_cmp_le_u32_e32 vcc_lo, s0, v2
	s_subb_u32 s26, s26, 0
	s_delay_alu instid0(SALU_CYCLE_1)
	s_cmp_ge_u32 s26, s1
	v_cndmask_b32_e64 v2, 0, -1, vcc_lo
	s_cselect_b32 s27, -1, 0
	s_cmp_eq_u32 s26, s1
	s_cselect_b32 vcc_lo, -1, 0
	s_add_u32 s26, s3, 1
	v_cndmask_b32_e32 v2, s27, v2, vcc_lo
	s_addc_u32 s27, s9, 0
	s_add_u32 s28, s3, 2
	s_addc_u32 s29, s9, 0
	v_mov_b32_e32 v3, s28
	s_cmp_lg_u32 s24, 0
	v_cmp_le_u32_e32 vcc_lo, s0, v1
	s_subb_u32 s0, s25, s12
	s_delay_alu instid0(SALU_CYCLE_1)
	s_cmp_ge_u32 s0, s1
	v_cndmask_b32_e64 v1, 0, -1, vcc_lo
	s_cselect_b32 s12, -1, 0
	s_cmp_eq_u32 s0, s1
	v_cmp_ne_u32_e32 vcc_lo, 0, v2
	s_cselect_b32 s0, -1, 0
	v_mov_b32_e32 v2, s29
	v_cndmask_b32_e64 v1, s12, v1, s0
	s_xor_b64 s[0:1], s[22:23], s[20:21]
	v_cndmask_b32_e32 v3, s26, v3, vcc_lo
	s_delay_alu instid0(VALU_DEP_3) | instskip(NEXT) | instid1(VALU_DEP_3)
	v_cndmask_b32_e32 v2, s27, v2, vcc_lo
	v_cmp_ne_u32_e32 vcc_lo, 0, v1
	s_delay_alu instid0(VALU_DEP_2) | instskip(NEXT) | instid1(VALU_DEP_4)
	v_cndmask_b32_e32 v1, s9, v2, vcc_lo
	v_cndmask_b32_e32 v2, s3, v3, vcc_lo
	s_delay_alu instid0(VALU_DEP_2) | instskip(NEXT) | instid1(VALU_DEP_2)
	v_xor_b32_e32 v1, s1, v1
	v_xor_b32_e32 v2, s0, v2
	s_delay_alu instid0(VALU_DEP_1) | instskip(NEXT) | instid1(VALU_DEP_3)
	v_sub_co_u32 v4, vcc_lo, v2, s0
	v_subrev_co_ci_u32_e32 v5, vcc_lo, s1, v1, vcc_lo
	s_and_not1_b32 vcc_lo, exec_lo, s2
	s_cbranch_vccnz .LBB14_3
.LBB14_2:
	v_cvt_f32_u32_e32 v1, s18
	s_sub_i32 s1, 0, s18
	s_delay_alu instid0(VALU_DEP_1) | instskip(SKIP_2) | instid1(VALU_DEP_1)
	v_rcp_iflag_f32_e32 v1, v1
	s_waitcnt_depctr 0xfff
	v_mul_f32_e32 v1, 0x4f7ffffe, v1
	v_cvt_u32_f32_e32 v1, v1
	s_delay_alu instid0(VALU_DEP_1) | instskip(NEXT) | instid1(VALU_DEP_1)
	v_readfirstlane_b32 s0, v1
	s_mul_i32 s1, s1, s0
	s_delay_alu instid0(SALU_CYCLE_1) | instskip(NEXT) | instid1(SALU_CYCLE_1)
	s_mul_hi_u32 s1, s0, s1
	s_add_i32 s0, s0, s1
	s_delay_alu instid0(SALU_CYCLE_1) | instskip(NEXT) | instid1(SALU_CYCLE_1)
	s_mul_hi_u32 s0, s8, s0
	s_mul_i32 s1, s0, s18
	s_add_i32 s2, s0, 1
	s_sub_i32 s1, s8, s1
	s_delay_alu instid0(SALU_CYCLE_1)
	s_sub_i32 s3, s1, s18
	s_cmp_ge_u32 s1, s18
	s_cselect_b32 s0, s2, s0
	s_cselect_b32 s1, s3, s1
	s_add_i32 s2, s0, 1
	s_cmp_ge_u32 s1, s18
	s_mov_b32 s1, 0
	s_cselect_b32 s0, s2, s0
	s_delay_alu instid0(SALU_CYCLE_1)
	v_dual_mov_b32 v5, s1 :: v_dual_mov_b32 v4, s0
.LBB14_3:
	v_and_b32_e32 v9, 0x3ff, v0
	s_lshl_b32 s0, s13, 5
	s_lshl_b32 s1, s14, 5
	v_bfe_u32 v8, v0, 10, 10
	s_lshl_b32 s8, s15, 3
	v_add_nc_u32_e32 v6, s0, v9
	v_add_nc_u32_e32 v10, s1, v9
	s_mov_b32 s9, 0
	v_add_nc_u32_e32 v2, s1, v8
	v_cmp_lt_i64_e64 s2, s[8:9], v[4:5]
	v_ashrrev_i32_e32 v7, 31, v6
	v_ashrrev_i32_e32 v11, 31, v10
	v_add_nc_u32_e32 v0, s0, v8
	v_lshlrev_b32_e32 v12, 2, v9
	s_delay_alu instid0(VALU_DEP_4) | instskip(SKIP_3) | instid1(VALU_DEP_4)
	v_lshlrev_b64 v[13:14], 1, v[6:7]
	v_cmp_gt_i64_e64 s1, s[16:17], v[6:7]
	v_lshlrev_b64 v[6:7], 1, v[10:11]
	v_cmp_le_i64_e64 s0, s[10:11], v[10:11]
	v_add_co_u32 v13, vcc_lo, s4, v13
	v_add_co_ci_u32_e32 v14, vcc_lo, s5, v14, vcc_lo
	s_delay_alu instid0(VALU_DEP_4)
	v_add_co_u32 v10, vcc_lo, s6, v6
	v_add_co_ci_u32_e32 v11, vcc_lo, s7, v7, vcc_lo
	s_and_b32 vcc_lo, exec_lo, s2
	s_cbranch_vccz .LBB14_22
; %bb.4:
	s_mul_i32 s3, s19, s8
	s_mul_hi_u32 s4, s18, s8
	s_delay_alu instid0(SALU_CYCLE_1)
	s_add_i32 s5, s4, s3
	s_mul_i32 s4, s18, s8
	s_and_saveexec_b32 s3, s1
	s_cbranch_execz .LBB14_13
; %bb.5:
	s_lshl_b64 s[6:7], s[4:5], 1
	v_ashrrev_i32_e32 v3, 31, v2
	v_add_co_u32 v1, vcc_lo, v13, s6
	v_add_co_ci_u32_e32 v15, vcc_lo, s7, v14, vcc_lo
	v_mad_u32_u24 v16, 0x84, v8, v12
	s_mov_b32 s6, exec_lo
	v_cmpx_gt_i64_e64 s[10:11], v[2:3]
	s_cbranch_execz .LBB14_7
; %bb.6:
	v_mul_lo_u32 v3, v3, s16
	v_mul_lo_u32 v17, v2, s17
	v_mad_u64_u32 v[6:7], null, v2, s16, 0
	s_delay_alu instid0(VALU_DEP_1) | instskip(NEXT) | instid1(VALU_DEP_1)
	v_add3_u32 v7, v7, v17, v3
	v_lshlrev_b64 v[6:7], 1, v[6:7]
	s_delay_alu instid0(VALU_DEP_1) | instskip(NEXT) | instid1(VALU_DEP_2)
	v_add_co_u32 v6, vcc_lo, v1, v6
	v_add_co_ci_u32_e32 v7, vcc_lo, v15, v7, vcc_lo
	global_load_u16 v3, v[6:7], off
	s_waitcnt vmcnt(0)
	ds_store_b16 v16, v3
.LBB14_7:
	s_or_b32 exec_lo, exec_lo, s6
	v_add_nc_u32_e32 v6, 8, v2
	s_mov_b32 s6, exec_lo
	s_delay_alu instid0(VALU_DEP_1) | instskip(NEXT) | instid1(VALU_DEP_1)
	v_ashrrev_i32_e32 v7, 31, v6
	v_cmpx_gt_i64_e64 s[10:11], v[6:7]
	s_cbranch_execz .LBB14_9
; %bb.8:
	v_mul_lo_u32 v3, v7, s16
	v_mul_lo_u32 v7, v6, s17
	v_mad_u64_u32 v[17:18], null, v6, s16, 0
	s_delay_alu instid0(VALU_DEP_1) | instskip(NEXT) | instid1(VALU_DEP_1)
	v_add3_u32 v18, v18, v7, v3
	v_lshlrev_b64 v[6:7], 1, v[17:18]
	s_delay_alu instid0(VALU_DEP_1) | instskip(NEXT) | instid1(VALU_DEP_2)
	v_add_co_u32 v6, vcc_lo, v1, v6
	v_add_co_ci_u32_e32 v7, vcc_lo, v15, v7, vcc_lo
	global_load_u16 v3, v[6:7], off
	s_waitcnt vmcnt(0)
	ds_store_b16 v16, v3 offset:1056
.LBB14_9:
	s_or_b32 exec_lo, exec_lo, s6
	v_add_nc_u32_e32 v6, 16, v2
	s_mov_b32 s6, exec_lo
	s_delay_alu instid0(VALU_DEP_1) | instskip(NEXT) | instid1(VALU_DEP_1)
	v_ashrrev_i32_e32 v7, 31, v6
	v_cmpx_gt_i64_e64 s[10:11], v[6:7]
	s_cbranch_execz .LBB14_11
; %bb.10:
	v_mul_lo_u32 v3, v7, s16
	v_mul_lo_u32 v7, v6, s17
	v_mad_u64_u32 v[17:18], null, v6, s16, 0
	s_delay_alu instid0(VALU_DEP_1) | instskip(NEXT) | instid1(VALU_DEP_1)
	v_add3_u32 v18, v18, v7, v3
	v_lshlrev_b64 v[6:7], 1, v[17:18]
	s_delay_alu instid0(VALU_DEP_1) | instskip(NEXT) | instid1(VALU_DEP_2)
	v_add_co_u32 v6, vcc_lo, v1, v6
	v_add_co_ci_u32_e32 v7, vcc_lo, v15, v7, vcc_lo
	global_load_u16 v3, v[6:7], off
	s_waitcnt vmcnt(0)
	ds_store_b16 v16, v3 offset:2112
.LBB14_11:
	s_or_b32 exec_lo, exec_lo, s6
	v_add_nc_u32_e32 v6, 24, v2
	s_delay_alu instid0(VALU_DEP_1) | instskip(NEXT) | instid1(VALU_DEP_1)
	v_ashrrev_i32_e32 v7, 31, v6
	v_cmp_gt_i64_e32 vcc_lo, s[10:11], v[6:7]
	s_and_b32 exec_lo, exec_lo, vcc_lo
	s_cbranch_execz .LBB14_13
; %bb.12:
	v_mul_lo_u32 v3, v7, s16
	v_mul_lo_u32 v7, v6, s17
	v_mad_u64_u32 v[17:18], null, v6, s16, 0
	s_delay_alu instid0(VALU_DEP_1) | instskip(NEXT) | instid1(VALU_DEP_1)
	v_add3_u32 v18, v18, v7, v3
	v_lshlrev_b64 v[6:7], 1, v[17:18]
	s_delay_alu instid0(VALU_DEP_1) | instskip(NEXT) | instid1(VALU_DEP_2)
	v_add_co_u32 v6, vcc_lo, v1, v6
	v_add_co_ci_u32_e32 v7, vcc_lo, v15, v7, vcc_lo
	global_load_u16 v1, v[6:7], off
	s_waitcnt vmcnt(0)
	ds_store_b16 v16, v1 offset:3168
.LBB14_13:
	s_or_b32 exec_lo, exec_lo, s3
	v_ashrrev_i32_e32 v1, 31, v0
	v_lshl_add_u32 v6, v9, 7, v12
	s_lshl_b64 s[4:5], s[4:5], 1
	s_waitcnt lgkmcnt(0)
	v_add_co_u32 v3, s3, v10, s4
	v_cmp_gt_i64_e32 vcc_lo, s[16:17], v[0:1]
	v_add_co_ci_u32_e64 v15, s3, s5, v11, s3
	v_lshl_add_u32 v16, v8, 2, v6
	s_xor_b32 s3, s0, -1
	s_barrier
	s_and_b32 s5, vcc_lo, s3
	buffer_gl0_inv
	s_and_saveexec_b32 s4, s5
	s_cbranch_execz .LBB14_15
; %bb.14:
	v_mul_lo_u32 v1, v1, s10
	v_mul_lo_u32 v17, v0, s11
	v_mad_u64_u32 v[6:7], null, v0, s10, 0
	ds_load_u16 v18, v16
	v_add3_u32 v7, v7, v17, v1
	s_delay_alu instid0(VALU_DEP_1) | instskip(NEXT) | instid1(VALU_DEP_1)
	v_lshlrev_b64 v[6:7], 1, v[6:7]
	v_add_co_u32 v6, vcc_lo, v3, v6
	s_delay_alu instid0(VALU_DEP_2)
	v_add_co_ci_u32_e32 v7, vcc_lo, v15, v7, vcc_lo
	s_waitcnt lgkmcnt(0)
	global_store_b16 v[6:7], v18, off
.LBB14_15:
	s_or_b32 exec_lo, exec_lo, s4
	v_add_nc_u32_e32 v6, 8, v0
	s_delay_alu instid0(VALU_DEP_1) | instskip(NEXT) | instid1(VALU_DEP_1)
	v_ashrrev_i32_e32 v7, 31, v6
	v_cmp_gt_i64_e32 vcc_lo, s[16:17], v[6:7]
	s_and_b32 s5, vcc_lo, s3
	s_delay_alu instid0(SALU_CYCLE_1)
	s_and_saveexec_b32 s4, s5
	s_cbranch_execz .LBB14_17
; %bb.16:
	v_mul_lo_u32 v1, v7, s10
	v_mul_lo_u32 v7, v6, s11
	v_mad_u64_u32 v[17:18], null, v6, s10, 0
	ds_load_u16 v19, v16 offset:32
	v_add3_u32 v18, v18, v7, v1
	s_delay_alu instid0(VALU_DEP_1) | instskip(NEXT) | instid1(VALU_DEP_1)
	v_lshlrev_b64 v[6:7], 1, v[17:18]
	v_add_co_u32 v6, vcc_lo, v3, v6
	s_delay_alu instid0(VALU_DEP_2)
	v_add_co_ci_u32_e32 v7, vcc_lo, v15, v7, vcc_lo
	s_waitcnt lgkmcnt(0)
	global_store_b16 v[6:7], v19, off
.LBB14_17:
	s_or_b32 exec_lo, exec_lo, s4
	v_add_nc_u32_e32 v6, 16, v0
	s_delay_alu instid0(VALU_DEP_1) | instskip(NEXT) | instid1(VALU_DEP_1)
	v_ashrrev_i32_e32 v7, 31, v6
	v_cmp_gt_i64_e32 vcc_lo, s[16:17], v[6:7]
	s_and_b32 s5, vcc_lo, s3
	s_delay_alu instid0(SALU_CYCLE_1)
	s_and_saveexec_b32 s4, s5
	s_cbranch_execz .LBB14_19
; %bb.18:
	v_mul_lo_u32 v1, v7, s10
	v_mul_lo_u32 v7, v6, s11
	v_mad_u64_u32 v[17:18], null, v6, s10, 0
	ds_load_u16 v19, v16 offset:64
	v_add3_u32 v18, v18, v7, v1
	s_delay_alu instid0(VALU_DEP_1) | instskip(NEXT) | instid1(VALU_DEP_1)
	v_lshlrev_b64 v[6:7], 1, v[17:18]
	v_add_co_u32 v6, vcc_lo, v3, v6
	s_delay_alu instid0(VALU_DEP_2)
	v_add_co_ci_u32_e32 v7, vcc_lo, v15, v7, vcc_lo
	s_waitcnt lgkmcnt(0)
	global_store_b16 v[6:7], v19, off
.LBB14_19:
	;; [unrolled: 23-line block ×3, first 2 shown]
	s_or_b32 exec_lo, exec_lo, s3
	s_mov_b32 s9, 1
.LBB14_22:
	s_and_b32 vcc_lo, exec_lo, s2
	s_cbranch_vccz .LBB14_161
; %bb.23:
	s_or_b32 s4, s8, 1
	s_mov_b32 s5, 0
	s_delay_alu instid0(SALU_CYCLE_1)
	v_cmp_ge_u64_e32 vcc_lo, s[4:5], v[4:5]
	v_cmp_lt_u64_e64 s2, s[4:5], v[4:5]
	s_cbranch_vccnz .LBB14_42
; %bb.24:
	s_mul_i32 s3, s19, s4
	s_mul_hi_u32 s5, s18, s4
	s_mul_i32 s4, s18, s4
	s_add_i32 s5, s5, s3
	s_mul_i32 s6, s9, 0x1080
	s_and_saveexec_b32 s7, s1
	s_cbranch_execz .LBB14_33
; %bb.25:
	s_lshl_b64 s[12:13], s[4:5], 1
	v_ashrrev_i32_e32 v3, 31, v2
	v_add_co_u32 v1, s3, v13, s12
	s_delay_alu instid0(VALU_DEP_1) | instskip(SKIP_1) | instid1(VALU_DEP_3)
	v_add_co_ci_u32_e64 v15, s3, s13, v14, s3
	s_mov_b32 s3, exec_lo
	v_cmpx_gt_i64_e64 s[10:11], v[2:3]
	s_cbranch_execz .LBB14_27
; %bb.26:
	v_mul_lo_u32 v3, v3, s16
	v_mul_lo_u32 v16, v2, s17
	v_mad_u64_u32 v[6:7], null, v2, s16, 0
	s_delay_alu instid0(VALU_DEP_1) | instskip(NEXT) | instid1(VALU_DEP_1)
	v_add3_u32 v7, v7, v16, v3
	v_lshlrev_b64 v[6:7], 1, v[6:7]
	s_delay_alu instid0(VALU_DEP_1) | instskip(NEXT) | instid1(VALU_DEP_2)
	v_add_co_u32 v6, vcc_lo, v1, v6
	v_add_co_ci_u32_e32 v7, vcc_lo, v15, v7, vcc_lo
	global_load_u16 v3, v[6:7], off
	v_mul_u32_u24_e32 v6, 0x84, v8
	s_delay_alu instid0(VALU_DEP_1)
	v_add3_u32 v6, v12, s6, v6
	s_waitcnt vmcnt(0)
	ds_store_b16 v6, v3
.LBB14_27:
	s_or_b32 exec_lo, exec_lo, s3
	v_add_nc_u32_e32 v6, 8, v2
	s_mov_b32 s3, exec_lo
	s_delay_alu instid0(VALU_DEP_1) | instskip(NEXT) | instid1(VALU_DEP_1)
	v_ashrrev_i32_e32 v7, 31, v6
	v_cmpx_gt_i64_e64 s[10:11], v[6:7]
	s_cbranch_execz .LBB14_29
; %bb.28:
	v_mul_lo_u32 v3, v7, s16
	v_mul_lo_u32 v7, v6, s17
	v_mad_u64_u32 v[16:17], null, v6, s16, 0
	s_delay_alu instid0(VALU_DEP_1) | instskip(NEXT) | instid1(VALU_DEP_1)
	v_add3_u32 v17, v17, v7, v3
	v_lshlrev_b64 v[6:7], 1, v[16:17]
	s_delay_alu instid0(VALU_DEP_1) | instskip(NEXT) | instid1(VALU_DEP_2)
	v_add_co_u32 v6, vcc_lo, v1, v6
	v_add_co_ci_u32_e32 v7, vcc_lo, v15, v7, vcc_lo
	global_load_u16 v3, v[6:7], off
	v_mul_u32_u24_e32 v6, 0x84, v8
	s_delay_alu instid0(VALU_DEP_1)
	v_add3_u32 v6, v12, s6, v6
	s_waitcnt vmcnt(0)
	ds_store_b16 v6, v3 offset:1056
.LBB14_29:
	s_or_b32 exec_lo, exec_lo, s3
	v_add_nc_u32_e32 v6, 16, v2
	s_mov_b32 s3, exec_lo
	s_delay_alu instid0(VALU_DEP_1) | instskip(NEXT) | instid1(VALU_DEP_1)
	v_ashrrev_i32_e32 v7, 31, v6
	v_cmpx_gt_i64_e64 s[10:11], v[6:7]
	s_cbranch_execz .LBB14_31
; %bb.30:
	v_mul_lo_u32 v3, v7, s16
	v_mul_lo_u32 v7, v6, s17
	v_mad_u64_u32 v[16:17], null, v6, s16, 0
	s_delay_alu instid0(VALU_DEP_1) | instskip(NEXT) | instid1(VALU_DEP_1)
	v_add3_u32 v17, v17, v7, v3
	v_lshlrev_b64 v[6:7], 1, v[16:17]
	s_delay_alu instid0(VALU_DEP_1) | instskip(NEXT) | instid1(VALU_DEP_2)
	v_add_co_u32 v6, vcc_lo, v1, v6
	v_add_co_ci_u32_e32 v7, vcc_lo, v15, v7, vcc_lo
	global_load_u16 v3, v[6:7], off
	v_mul_u32_u24_e32 v6, 0x84, v8
	s_delay_alu instid0(VALU_DEP_1)
	v_add3_u32 v6, v12, s6, v6
	s_waitcnt vmcnt(0)
	ds_store_b16 v6, v3 offset:2112
.LBB14_31:
	s_or_b32 exec_lo, exec_lo, s3
	v_add_nc_u32_e32 v6, 24, v2
	s_delay_alu instid0(VALU_DEP_1) | instskip(NEXT) | instid1(VALU_DEP_1)
	v_ashrrev_i32_e32 v7, 31, v6
	v_cmp_gt_i64_e32 vcc_lo, s[10:11], v[6:7]
	s_and_b32 exec_lo, exec_lo, vcc_lo
	s_cbranch_execz .LBB14_33
; %bb.32:
	v_mul_lo_u32 v3, v7, s16
	v_mul_lo_u32 v7, v6, s17
	v_mad_u64_u32 v[16:17], null, v6, s16, 0
	s_delay_alu instid0(VALU_DEP_1) | instskip(SKIP_1) | instid1(VALU_DEP_2)
	v_add3_u32 v17, v17, v7, v3
	v_mul_u32_u24_e32 v3, 0x84, v8
	v_lshlrev_b64 v[6:7], 1, v[16:17]
	s_delay_alu instid0(VALU_DEP_2) | instskip(NEXT) | instid1(VALU_DEP_2)
	v_add3_u32 v3, v12, s6, v3
	v_add_co_u32 v6, vcc_lo, v1, v6
	s_delay_alu instid0(VALU_DEP_3)
	v_add_co_ci_u32_e32 v7, vcc_lo, v15, v7, vcc_lo
	global_load_u16 v1, v[6:7], off
	s_waitcnt vmcnt(0)
	ds_store_b16 v3, v1 offset:3168
.LBB14_33:
	s_or_b32 exec_lo, exec_lo, s7
	v_ashrrev_i32_e32 v1, 31, v0
	v_mad_u32_u24 v6, 0x84, v9, s6
	s_lshl_b64 s[4:5], s[4:5], 1
	s_waitcnt lgkmcnt(0)
	s_waitcnt_vscnt null, 0x0
	v_add_co_u32 v3, s3, v10, s4
	v_cmp_gt_i64_e32 vcc_lo, s[16:17], v[0:1]
	v_add_co_ci_u32_e64 v15, s3, s5, v11, s3
	v_lshl_add_u32 v16, v8, 2, v6
	s_xor_b32 s3, s0, -1
	s_barrier
	s_and_b32 s5, vcc_lo, s3
	buffer_gl0_inv
	s_and_saveexec_b32 s4, s5
	s_cbranch_execz .LBB14_35
; %bb.34:
	v_mul_lo_u32 v1, v1, s10
	v_mul_lo_u32 v17, v0, s11
	v_mad_u64_u32 v[6:7], null, v0, s10, 0
	ds_load_u16 v18, v16
	v_add3_u32 v7, v7, v17, v1
	s_delay_alu instid0(VALU_DEP_1) | instskip(NEXT) | instid1(VALU_DEP_1)
	v_lshlrev_b64 v[6:7], 1, v[6:7]
	v_add_co_u32 v6, vcc_lo, v3, v6
	s_delay_alu instid0(VALU_DEP_2)
	v_add_co_ci_u32_e32 v7, vcc_lo, v15, v7, vcc_lo
	s_waitcnt lgkmcnt(0)
	global_store_b16 v[6:7], v18, off
.LBB14_35:
	s_or_b32 exec_lo, exec_lo, s4
	v_add_nc_u32_e32 v6, 8, v0
	s_delay_alu instid0(VALU_DEP_1) | instskip(NEXT) | instid1(VALU_DEP_1)
	v_ashrrev_i32_e32 v7, 31, v6
	v_cmp_gt_i64_e32 vcc_lo, s[16:17], v[6:7]
	s_and_b32 s5, vcc_lo, s3
	s_delay_alu instid0(SALU_CYCLE_1)
	s_and_saveexec_b32 s4, s5
	s_cbranch_execz .LBB14_37
; %bb.36:
	v_mul_lo_u32 v1, v7, s10
	v_mul_lo_u32 v7, v6, s11
	v_mad_u64_u32 v[17:18], null, v6, s10, 0
	ds_load_u16 v19, v16 offset:32
	v_add3_u32 v18, v18, v7, v1
	s_delay_alu instid0(VALU_DEP_1) | instskip(NEXT) | instid1(VALU_DEP_1)
	v_lshlrev_b64 v[6:7], 1, v[17:18]
	v_add_co_u32 v6, vcc_lo, v3, v6
	s_delay_alu instid0(VALU_DEP_2)
	v_add_co_ci_u32_e32 v7, vcc_lo, v15, v7, vcc_lo
	s_waitcnt lgkmcnt(0)
	global_store_b16 v[6:7], v19, off
.LBB14_37:
	s_or_b32 exec_lo, exec_lo, s4
	v_add_nc_u32_e32 v6, 16, v0
	s_delay_alu instid0(VALU_DEP_1) | instskip(NEXT) | instid1(VALU_DEP_1)
	v_ashrrev_i32_e32 v7, 31, v6
	v_cmp_gt_i64_e32 vcc_lo, s[16:17], v[6:7]
	s_and_b32 s5, vcc_lo, s3
	s_delay_alu instid0(SALU_CYCLE_1)
	s_and_saveexec_b32 s4, s5
	s_cbranch_execz .LBB14_39
; %bb.38:
	v_mul_lo_u32 v1, v7, s10
	v_mul_lo_u32 v7, v6, s11
	v_mad_u64_u32 v[17:18], null, v6, s10, 0
	ds_load_u16 v19, v16 offset:64
	v_add3_u32 v18, v18, v7, v1
	s_delay_alu instid0(VALU_DEP_1) | instskip(NEXT) | instid1(VALU_DEP_1)
	v_lshlrev_b64 v[6:7], 1, v[17:18]
	v_add_co_u32 v6, vcc_lo, v3, v6
	s_delay_alu instid0(VALU_DEP_2)
	v_add_co_ci_u32_e32 v7, vcc_lo, v15, v7, vcc_lo
	s_waitcnt lgkmcnt(0)
	global_store_b16 v[6:7], v19, off
.LBB14_39:
	;; [unrolled: 23-line block ×3, first 2 shown]
	s_or_b32 exec_lo, exec_lo, s3
	s_xor_b32 s9, s9, 1
.LBB14_42:
	s_delay_alu instid0(VALU_DEP_1)
	s_and_not1_b32 vcc_lo, exec_lo, s2
	s_cbranch_vccnz .LBB14_161
; %bb.43:
	s_or_b32 s4, s8, 2
	s_mov_b32 s5, 0
	s_delay_alu instid0(SALU_CYCLE_1)
	v_cmp_ge_u64_e32 vcc_lo, s[4:5], v[4:5]
	v_cmp_lt_u64_e64 s2, s[4:5], v[4:5]
	s_cbranch_vccnz .LBB14_62
; %bb.44:
	s_mul_i32 s3, s19, s4
	s_mul_hi_u32 s5, s18, s4
	s_mul_i32 s4, s18, s4
	s_add_i32 s5, s5, s3
	s_mul_i32 s6, s9, 0x1080
	s_and_saveexec_b32 s7, s1
	s_cbranch_execz .LBB14_53
; %bb.45:
	s_lshl_b64 s[12:13], s[4:5], 1
	v_ashrrev_i32_e32 v3, 31, v2
	v_add_co_u32 v1, s3, v13, s12
	s_delay_alu instid0(VALU_DEP_1) | instskip(SKIP_1) | instid1(VALU_DEP_3)
	v_add_co_ci_u32_e64 v15, s3, s13, v14, s3
	s_mov_b32 s3, exec_lo
	v_cmpx_gt_i64_e64 s[10:11], v[2:3]
	s_cbranch_execz .LBB14_47
; %bb.46:
	v_mul_lo_u32 v3, v3, s16
	v_mul_lo_u32 v16, v2, s17
	v_mad_u64_u32 v[6:7], null, v2, s16, 0
	s_delay_alu instid0(VALU_DEP_1) | instskip(NEXT) | instid1(VALU_DEP_1)
	v_add3_u32 v7, v7, v16, v3
	v_lshlrev_b64 v[6:7], 1, v[6:7]
	s_delay_alu instid0(VALU_DEP_1) | instskip(NEXT) | instid1(VALU_DEP_2)
	v_add_co_u32 v6, vcc_lo, v1, v6
	v_add_co_ci_u32_e32 v7, vcc_lo, v15, v7, vcc_lo
	global_load_u16 v3, v[6:7], off
	v_mul_u32_u24_e32 v6, 0x84, v8
	s_delay_alu instid0(VALU_DEP_1)
	v_add3_u32 v6, v12, s6, v6
	s_waitcnt vmcnt(0)
	ds_store_b16 v6, v3
.LBB14_47:
	s_or_b32 exec_lo, exec_lo, s3
	v_add_nc_u32_e32 v6, 8, v2
	s_mov_b32 s3, exec_lo
	s_delay_alu instid0(VALU_DEP_1) | instskip(NEXT) | instid1(VALU_DEP_1)
	v_ashrrev_i32_e32 v7, 31, v6
	v_cmpx_gt_i64_e64 s[10:11], v[6:7]
	s_cbranch_execz .LBB14_49
; %bb.48:
	v_mul_lo_u32 v3, v7, s16
	v_mul_lo_u32 v7, v6, s17
	v_mad_u64_u32 v[16:17], null, v6, s16, 0
	s_delay_alu instid0(VALU_DEP_1) | instskip(NEXT) | instid1(VALU_DEP_1)
	v_add3_u32 v17, v17, v7, v3
	v_lshlrev_b64 v[6:7], 1, v[16:17]
	s_delay_alu instid0(VALU_DEP_1) | instskip(NEXT) | instid1(VALU_DEP_2)
	v_add_co_u32 v6, vcc_lo, v1, v6
	v_add_co_ci_u32_e32 v7, vcc_lo, v15, v7, vcc_lo
	global_load_u16 v3, v[6:7], off
	v_mul_u32_u24_e32 v6, 0x84, v8
	s_delay_alu instid0(VALU_DEP_1)
	v_add3_u32 v6, v12, s6, v6
	s_waitcnt vmcnt(0)
	ds_store_b16 v6, v3 offset:1056
.LBB14_49:
	s_or_b32 exec_lo, exec_lo, s3
	v_add_nc_u32_e32 v6, 16, v2
	s_mov_b32 s3, exec_lo
	s_delay_alu instid0(VALU_DEP_1) | instskip(NEXT) | instid1(VALU_DEP_1)
	v_ashrrev_i32_e32 v7, 31, v6
	v_cmpx_gt_i64_e64 s[10:11], v[6:7]
	s_cbranch_execz .LBB14_51
; %bb.50:
	v_mul_lo_u32 v3, v7, s16
	v_mul_lo_u32 v7, v6, s17
	v_mad_u64_u32 v[16:17], null, v6, s16, 0
	s_delay_alu instid0(VALU_DEP_1) | instskip(NEXT) | instid1(VALU_DEP_1)
	v_add3_u32 v17, v17, v7, v3
	v_lshlrev_b64 v[6:7], 1, v[16:17]
	s_delay_alu instid0(VALU_DEP_1) | instskip(NEXT) | instid1(VALU_DEP_2)
	v_add_co_u32 v6, vcc_lo, v1, v6
	v_add_co_ci_u32_e32 v7, vcc_lo, v15, v7, vcc_lo
	global_load_u16 v3, v[6:7], off
	v_mul_u32_u24_e32 v6, 0x84, v8
	s_delay_alu instid0(VALU_DEP_1)
	v_add3_u32 v6, v12, s6, v6
	s_waitcnt vmcnt(0)
	ds_store_b16 v6, v3 offset:2112
.LBB14_51:
	s_or_b32 exec_lo, exec_lo, s3
	v_add_nc_u32_e32 v6, 24, v2
	s_delay_alu instid0(VALU_DEP_1) | instskip(NEXT) | instid1(VALU_DEP_1)
	v_ashrrev_i32_e32 v7, 31, v6
	v_cmp_gt_i64_e32 vcc_lo, s[10:11], v[6:7]
	s_and_b32 exec_lo, exec_lo, vcc_lo
	s_cbranch_execz .LBB14_53
; %bb.52:
	v_mul_lo_u32 v3, v7, s16
	v_mul_lo_u32 v7, v6, s17
	v_mad_u64_u32 v[16:17], null, v6, s16, 0
	s_delay_alu instid0(VALU_DEP_1) | instskip(SKIP_1) | instid1(VALU_DEP_2)
	v_add3_u32 v17, v17, v7, v3
	v_mul_u32_u24_e32 v3, 0x84, v8
	v_lshlrev_b64 v[6:7], 1, v[16:17]
	s_delay_alu instid0(VALU_DEP_2) | instskip(NEXT) | instid1(VALU_DEP_2)
	v_add3_u32 v3, v12, s6, v3
	v_add_co_u32 v6, vcc_lo, v1, v6
	s_delay_alu instid0(VALU_DEP_3)
	v_add_co_ci_u32_e32 v7, vcc_lo, v15, v7, vcc_lo
	global_load_u16 v1, v[6:7], off
	s_waitcnt vmcnt(0)
	ds_store_b16 v3, v1 offset:3168
.LBB14_53:
	s_or_b32 exec_lo, exec_lo, s7
	v_ashrrev_i32_e32 v1, 31, v0
	v_mad_u32_u24 v6, 0x84, v9, s6
	s_lshl_b64 s[4:5], s[4:5], 1
	s_waitcnt lgkmcnt(0)
	s_waitcnt_vscnt null, 0x0
	v_add_co_u32 v3, s3, v10, s4
	v_cmp_gt_i64_e32 vcc_lo, s[16:17], v[0:1]
	v_add_co_ci_u32_e64 v15, s3, s5, v11, s3
	v_lshl_add_u32 v16, v8, 2, v6
	s_xor_b32 s3, s0, -1
	s_barrier
	s_and_b32 s5, vcc_lo, s3
	buffer_gl0_inv
	s_and_saveexec_b32 s4, s5
	s_cbranch_execz .LBB14_55
; %bb.54:
	v_mul_lo_u32 v1, v1, s10
	v_mul_lo_u32 v17, v0, s11
	v_mad_u64_u32 v[6:7], null, v0, s10, 0
	ds_load_u16 v18, v16
	v_add3_u32 v7, v7, v17, v1
	s_delay_alu instid0(VALU_DEP_1) | instskip(NEXT) | instid1(VALU_DEP_1)
	v_lshlrev_b64 v[6:7], 1, v[6:7]
	v_add_co_u32 v6, vcc_lo, v3, v6
	s_delay_alu instid0(VALU_DEP_2)
	v_add_co_ci_u32_e32 v7, vcc_lo, v15, v7, vcc_lo
	s_waitcnt lgkmcnt(0)
	global_store_b16 v[6:7], v18, off
.LBB14_55:
	s_or_b32 exec_lo, exec_lo, s4
	v_add_nc_u32_e32 v6, 8, v0
	s_delay_alu instid0(VALU_DEP_1) | instskip(NEXT) | instid1(VALU_DEP_1)
	v_ashrrev_i32_e32 v7, 31, v6
	v_cmp_gt_i64_e32 vcc_lo, s[16:17], v[6:7]
	s_and_b32 s5, vcc_lo, s3
	s_delay_alu instid0(SALU_CYCLE_1)
	s_and_saveexec_b32 s4, s5
	s_cbranch_execz .LBB14_57
; %bb.56:
	v_mul_lo_u32 v1, v7, s10
	v_mul_lo_u32 v7, v6, s11
	v_mad_u64_u32 v[17:18], null, v6, s10, 0
	ds_load_u16 v19, v16 offset:32
	v_add3_u32 v18, v18, v7, v1
	s_delay_alu instid0(VALU_DEP_1) | instskip(NEXT) | instid1(VALU_DEP_1)
	v_lshlrev_b64 v[6:7], 1, v[17:18]
	v_add_co_u32 v6, vcc_lo, v3, v6
	s_delay_alu instid0(VALU_DEP_2)
	v_add_co_ci_u32_e32 v7, vcc_lo, v15, v7, vcc_lo
	s_waitcnt lgkmcnt(0)
	global_store_b16 v[6:7], v19, off
.LBB14_57:
	s_or_b32 exec_lo, exec_lo, s4
	v_add_nc_u32_e32 v6, 16, v0
	s_delay_alu instid0(VALU_DEP_1) | instskip(NEXT) | instid1(VALU_DEP_1)
	v_ashrrev_i32_e32 v7, 31, v6
	v_cmp_gt_i64_e32 vcc_lo, s[16:17], v[6:7]
	s_and_b32 s5, vcc_lo, s3
	s_delay_alu instid0(SALU_CYCLE_1)
	s_and_saveexec_b32 s4, s5
	s_cbranch_execz .LBB14_59
; %bb.58:
	v_mul_lo_u32 v1, v7, s10
	v_mul_lo_u32 v7, v6, s11
	v_mad_u64_u32 v[17:18], null, v6, s10, 0
	ds_load_u16 v19, v16 offset:64
	v_add3_u32 v18, v18, v7, v1
	s_delay_alu instid0(VALU_DEP_1) | instskip(NEXT) | instid1(VALU_DEP_1)
	v_lshlrev_b64 v[6:7], 1, v[17:18]
	v_add_co_u32 v6, vcc_lo, v3, v6
	s_delay_alu instid0(VALU_DEP_2)
	v_add_co_ci_u32_e32 v7, vcc_lo, v15, v7, vcc_lo
	s_waitcnt lgkmcnt(0)
	global_store_b16 v[6:7], v19, off
.LBB14_59:
	;; [unrolled: 23-line block ×3, first 2 shown]
	s_or_b32 exec_lo, exec_lo, s3
	s_xor_b32 s9, s9, 1
.LBB14_62:
	s_delay_alu instid0(VALU_DEP_1)
	s_and_not1_b32 vcc_lo, exec_lo, s2
	s_cbranch_vccnz .LBB14_161
; %bb.63:
	s_or_b32 s4, s8, 3
	s_mov_b32 s5, 0
	s_delay_alu instid0(SALU_CYCLE_1)
	v_cmp_ge_u64_e32 vcc_lo, s[4:5], v[4:5]
	v_cmp_lt_u64_e64 s2, s[4:5], v[4:5]
	s_cbranch_vccnz .LBB14_82
; %bb.64:
	s_mul_i32 s3, s19, s4
	s_mul_hi_u32 s5, s18, s4
	s_mul_i32 s4, s18, s4
	s_add_i32 s5, s5, s3
	s_mul_i32 s6, s9, 0x1080
	s_and_saveexec_b32 s7, s1
	s_cbranch_execz .LBB14_73
; %bb.65:
	s_lshl_b64 s[12:13], s[4:5], 1
	v_ashrrev_i32_e32 v3, 31, v2
	v_add_co_u32 v1, s3, v13, s12
	s_delay_alu instid0(VALU_DEP_1) | instskip(SKIP_1) | instid1(VALU_DEP_3)
	v_add_co_ci_u32_e64 v15, s3, s13, v14, s3
	s_mov_b32 s3, exec_lo
	v_cmpx_gt_i64_e64 s[10:11], v[2:3]
	s_cbranch_execz .LBB14_67
; %bb.66:
	v_mul_lo_u32 v3, v3, s16
	v_mul_lo_u32 v16, v2, s17
	v_mad_u64_u32 v[6:7], null, v2, s16, 0
	s_delay_alu instid0(VALU_DEP_1) | instskip(NEXT) | instid1(VALU_DEP_1)
	v_add3_u32 v7, v7, v16, v3
	v_lshlrev_b64 v[6:7], 1, v[6:7]
	s_delay_alu instid0(VALU_DEP_1) | instskip(NEXT) | instid1(VALU_DEP_2)
	v_add_co_u32 v6, vcc_lo, v1, v6
	v_add_co_ci_u32_e32 v7, vcc_lo, v15, v7, vcc_lo
	global_load_u16 v3, v[6:7], off
	v_mul_u32_u24_e32 v6, 0x84, v8
	s_delay_alu instid0(VALU_DEP_1)
	v_add3_u32 v6, v12, s6, v6
	s_waitcnt vmcnt(0)
	ds_store_b16 v6, v3
.LBB14_67:
	s_or_b32 exec_lo, exec_lo, s3
	v_add_nc_u32_e32 v6, 8, v2
	s_mov_b32 s3, exec_lo
	s_delay_alu instid0(VALU_DEP_1) | instskip(NEXT) | instid1(VALU_DEP_1)
	v_ashrrev_i32_e32 v7, 31, v6
	v_cmpx_gt_i64_e64 s[10:11], v[6:7]
	s_cbranch_execz .LBB14_69
; %bb.68:
	v_mul_lo_u32 v3, v7, s16
	v_mul_lo_u32 v7, v6, s17
	v_mad_u64_u32 v[16:17], null, v6, s16, 0
	s_delay_alu instid0(VALU_DEP_1) | instskip(NEXT) | instid1(VALU_DEP_1)
	v_add3_u32 v17, v17, v7, v3
	v_lshlrev_b64 v[6:7], 1, v[16:17]
	s_delay_alu instid0(VALU_DEP_1) | instskip(NEXT) | instid1(VALU_DEP_2)
	v_add_co_u32 v6, vcc_lo, v1, v6
	v_add_co_ci_u32_e32 v7, vcc_lo, v15, v7, vcc_lo
	global_load_u16 v3, v[6:7], off
	v_mul_u32_u24_e32 v6, 0x84, v8
	s_delay_alu instid0(VALU_DEP_1)
	v_add3_u32 v6, v12, s6, v6
	s_waitcnt vmcnt(0)
	ds_store_b16 v6, v3 offset:1056
.LBB14_69:
	s_or_b32 exec_lo, exec_lo, s3
	v_add_nc_u32_e32 v6, 16, v2
	s_mov_b32 s3, exec_lo
	s_delay_alu instid0(VALU_DEP_1) | instskip(NEXT) | instid1(VALU_DEP_1)
	v_ashrrev_i32_e32 v7, 31, v6
	v_cmpx_gt_i64_e64 s[10:11], v[6:7]
	s_cbranch_execz .LBB14_71
; %bb.70:
	v_mul_lo_u32 v3, v7, s16
	v_mul_lo_u32 v7, v6, s17
	v_mad_u64_u32 v[16:17], null, v6, s16, 0
	s_delay_alu instid0(VALU_DEP_1) | instskip(NEXT) | instid1(VALU_DEP_1)
	v_add3_u32 v17, v17, v7, v3
	v_lshlrev_b64 v[6:7], 1, v[16:17]
	s_delay_alu instid0(VALU_DEP_1) | instskip(NEXT) | instid1(VALU_DEP_2)
	v_add_co_u32 v6, vcc_lo, v1, v6
	v_add_co_ci_u32_e32 v7, vcc_lo, v15, v7, vcc_lo
	global_load_u16 v3, v[6:7], off
	v_mul_u32_u24_e32 v6, 0x84, v8
	s_delay_alu instid0(VALU_DEP_1)
	v_add3_u32 v6, v12, s6, v6
	s_waitcnt vmcnt(0)
	ds_store_b16 v6, v3 offset:2112
.LBB14_71:
	s_or_b32 exec_lo, exec_lo, s3
	v_add_nc_u32_e32 v6, 24, v2
	s_delay_alu instid0(VALU_DEP_1) | instskip(NEXT) | instid1(VALU_DEP_1)
	v_ashrrev_i32_e32 v7, 31, v6
	v_cmp_gt_i64_e32 vcc_lo, s[10:11], v[6:7]
	s_and_b32 exec_lo, exec_lo, vcc_lo
	s_cbranch_execz .LBB14_73
; %bb.72:
	v_mul_lo_u32 v3, v7, s16
	v_mul_lo_u32 v7, v6, s17
	v_mad_u64_u32 v[16:17], null, v6, s16, 0
	s_delay_alu instid0(VALU_DEP_1) | instskip(SKIP_1) | instid1(VALU_DEP_2)
	v_add3_u32 v17, v17, v7, v3
	v_mul_u32_u24_e32 v3, 0x84, v8
	v_lshlrev_b64 v[6:7], 1, v[16:17]
	s_delay_alu instid0(VALU_DEP_2) | instskip(NEXT) | instid1(VALU_DEP_2)
	v_add3_u32 v3, v12, s6, v3
	v_add_co_u32 v6, vcc_lo, v1, v6
	s_delay_alu instid0(VALU_DEP_3)
	v_add_co_ci_u32_e32 v7, vcc_lo, v15, v7, vcc_lo
	global_load_u16 v1, v[6:7], off
	s_waitcnt vmcnt(0)
	ds_store_b16 v3, v1 offset:3168
.LBB14_73:
	s_or_b32 exec_lo, exec_lo, s7
	v_ashrrev_i32_e32 v1, 31, v0
	v_mad_u32_u24 v6, 0x84, v9, s6
	s_lshl_b64 s[4:5], s[4:5], 1
	s_waitcnt lgkmcnt(0)
	s_waitcnt_vscnt null, 0x0
	v_add_co_u32 v3, s3, v10, s4
	v_cmp_gt_i64_e32 vcc_lo, s[16:17], v[0:1]
	v_add_co_ci_u32_e64 v15, s3, s5, v11, s3
	v_lshl_add_u32 v16, v8, 2, v6
	s_xor_b32 s3, s0, -1
	s_barrier
	s_and_b32 s5, vcc_lo, s3
	buffer_gl0_inv
	s_and_saveexec_b32 s4, s5
	s_cbranch_execz .LBB14_75
; %bb.74:
	v_mul_lo_u32 v1, v1, s10
	v_mul_lo_u32 v17, v0, s11
	v_mad_u64_u32 v[6:7], null, v0, s10, 0
	ds_load_u16 v18, v16
	v_add3_u32 v7, v7, v17, v1
	s_delay_alu instid0(VALU_DEP_1) | instskip(NEXT) | instid1(VALU_DEP_1)
	v_lshlrev_b64 v[6:7], 1, v[6:7]
	v_add_co_u32 v6, vcc_lo, v3, v6
	s_delay_alu instid0(VALU_DEP_2)
	v_add_co_ci_u32_e32 v7, vcc_lo, v15, v7, vcc_lo
	s_waitcnt lgkmcnt(0)
	global_store_b16 v[6:7], v18, off
.LBB14_75:
	s_or_b32 exec_lo, exec_lo, s4
	v_add_nc_u32_e32 v6, 8, v0
	s_delay_alu instid0(VALU_DEP_1) | instskip(NEXT) | instid1(VALU_DEP_1)
	v_ashrrev_i32_e32 v7, 31, v6
	v_cmp_gt_i64_e32 vcc_lo, s[16:17], v[6:7]
	s_and_b32 s5, vcc_lo, s3
	s_delay_alu instid0(SALU_CYCLE_1)
	s_and_saveexec_b32 s4, s5
	s_cbranch_execz .LBB14_77
; %bb.76:
	v_mul_lo_u32 v1, v7, s10
	v_mul_lo_u32 v7, v6, s11
	v_mad_u64_u32 v[17:18], null, v6, s10, 0
	ds_load_u16 v19, v16 offset:32
	v_add3_u32 v18, v18, v7, v1
	s_delay_alu instid0(VALU_DEP_1) | instskip(NEXT) | instid1(VALU_DEP_1)
	v_lshlrev_b64 v[6:7], 1, v[17:18]
	v_add_co_u32 v6, vcc_lo, v3, v6
	s_delay_alu instid0(VALU_DEP_2)
	v_add_co_ci_u32_e32 v7, vcc_lo, v15, v7, vcc_lo
	s_waitcnt lgkmcnt(0)
	global_store_b16 v[6:7], v19, off
.LBB14_77:
	s_or_b32 exec_lo, exec_lo, s4
	v_add_nc_u32_e32 v6, 16, v0
	s_delay_alu instid0(VALU_DEP_1) | instskip(NEXT) | instid1(VALU_DEP_1)
	v_ashrrev_i32_e32 v7, 31, v6
	v_cmp_gt_i64_e32 vcc_lo, s[16:17], v[6:7]
	s_and_b32 s5, vcc_lo, s3
	s_delay_alu instid0(SALU_CYCLE_1)
	s_and_saveexec_b32 s4, s5
	s_cbranch_execz .LBB14_79
; %bb.78:
	v_mul_lo_u32 v1, v7, s10
	v_mul_lo_u32 v7, v6, s11
	v_mad_u64_u32 v[17:18], null, v6, s10, 0
	ds_load_u16 v19, v16 offset:64
	v_add3_u32 v18, v18, v7, v1
	s_delay_alu instid0(VALU_DEP_1) | instskip(NEXT) | instid1(VALU_DEP_1)
	v_lshlrev_b64 v[6:7], 1, v[17:18]
	v_add_co_u32 v6, vcc_lo, v3, v6
	s_delay_alu instid0(VALU_DEP_2)
	v_add_co_ci_u32_e32 v7, vcc_lo, v15, v7, vcc_lo
	s_waitcnt lgkmcnt(0)
	global_store_b16 v[6:7], v19, off
.LBB14_79:
	;; [unrolled: 23-line block ×3, first 2 shown]
	s_or_b32 exec_lo, exec_lo, s3
	s_xor_b32 s9, s9, 1
.LBB14_82:
	s_delay_alu instid0(VALU_DEP_1)
	s_and_not1_b32 vcc_lo, exec_lo, s2
	s_cbranch_vccnz .LBB14_161
; %bb.83:
	s_or_b32 s4, s8, 4
	s_mov_b32 s5, 0
	s_delay_alu instid0(SALU_CYCLE_1)
	v_cmp_ge_u64_e32 vcc_lo, s[4:5], v[4:5]
	v_cmp_lt_u64_e64 s2, s[4:5], v[4:5]
	s_cbranch_vccnz .LBB14_102
; %bb.84:
	s_mul_i32 s3, s19, s4
	s_mul_hi_u32 s5, s18, s4
	s_mul_i32 s4, s18, s4
	s_add_i32 s5, s5, s3
	s_mul_i32 s6, s9, 0x1080
	s_and_saveexec_b32 s7, s1
	s_cbranch_execz .LBB14_93
; %bb.85:
	s_lshl_b64 s[12:13], s[4:5], 1
	v_ashrrev_i32_e32 v3, 31, v2
	v_add_co_u32 v1, s3, v13, s12
	s_delay_alu instid0(VALU_DEP_1) | instskip(SKIP_1) | instid1(VALU_DEP_3)
	v_add_co_ci_u32_e64 v15, s3, s13, v14, s3
	s_mov_b32 s3, exec_lo
	v_cmpx_gt_i64_e64 s[10:11], v[2:3]
	s_cbranch_execz .LBB14_87
; %bb.86:
	v_mul_lo_u32 v3, v3, s16
	v_mul_lo_u32 v16, v2, s17
	v_mad_u64_u32 v[6:7], null, v2, s16, 0
	s_delay_alu instid0(VALU_DEP_1) | instskip(NEXT) | instid1(VALU_DEP_1)
	v_add3_u32 v7, v7, v16, v3
	v_lshlrev_b64 v[6:7], 1, v[6:7]
	s_delay_alu instid0(VALU_DEP_1) | instskip(NEXT) | instid1(VALU_DEP_2)
	v_add_co_u32 v6, vcc_lo, v1, v6
	v_add_co_ci_u32_e32 v7, vcc_lo, v15, v7, vcc_lo
	global_load_u16 v3, v[6:7], off
	v_mul_u32_u24_e32 v6, 0x84, v8
	s_delay_alu instid0(VALU_DEP_1)
	v_add3_u32 v6, v12, s6, v6
	s_waitcnt vmcnt(0)
	ds_store_b16 v6, v3
.LBB14_87:
	s_or_b32 exec_lo, exec_lo, s3
	v_add_nc_u32_e32 v6, 8, v2
	s_mov_b32 s3, exec_lo
	s_delay_alu instid0(VALU_DEP_1) | instskip(NEXT) | instid1(VALU_DEP_1)
	v_ashrrev_i32_e32 v7, 31, v6
	v_cmpx_gt_i64_e64 s[10:11], v[6:7]
	s_cbranch_execz .LBB14_89
; %bb.88:
	v_mul_lo_u32 v3, v7, s16
	v_mul_lo_u32 v7, v6, s17
	v_mad_u64_u32 v[16:17], null, v6, s16, 0
	s_delay_alu instid0(VALU_DEP_1) | instskip(NEXT) | instid1(VALU_DEP_1)
	v_add3_u32 v17, v17, v7, v3
	v_lshlrev_b64 v[6:7], 1, v[16:17]
	s_delay_alu instid0(VALU_DEP_1) | instskip(NEXT) | instid1(VALU_DEP_2)
	v_add_co_u32 v6, vcc_lo, v1, v6
	v_add_co_ci_u32_e32 v7, vcc_lo, v15, v7, vcc_lo
	global_load_u16 v3, v[6:7], off
	v_mul_u32_u24_e32 v6, 0x84, v8
	s_delay_alu instid0(VALU_DEP_1)
	v_add3_u32 v6, v12, s6, v6
	s_waitcnt vmcnt(0)
	ds_store_b16 v6, v3 offset:1056
.LBB14_89:
	s_or_b32 exec_lo, exec_lo, s3
	v_add_nc_u32_e32 v6, 16, v2
	s_mov_b32 s3, exec_lo
	s_delay_alu instid0(VALU_DEP_1) | instskip(NEXT) | instid1(VALU_DEP_1)
	v_ashrrev_i32_e32 v7, 31, v6
	v_cmpx_gt_i64_e64 s[10:11], v[6:7]
	s_cbranch_execz .LBB14_91
; %bb.90:
	v_mul_lo_u32 v3, v7, s16
	v_mul_lo_u32 v7, v6, s17
	v_mad_u64_u32 v[16:17], null, v6, s16, 0
	s_delay_alu instid0(VALU_DEP_1) | instskip(NEXT) | instid1(VALU_DEP_1)
	v_add3_u32 v17, v17, v7, v3
	v_lshlrev_b64 v[6:7], 1, v[16:17]
	s_delay_alu instid0(VALU_DEP_1) | instskip(NEXT) | instid1(VALU_DEP_2)
	v_add_co_u32 v6, vcc_lo, v1, v6
	v_add_co_ci_u32_e32 v7, vcc_lo, v15, v7, vcc_lo
	global_load_u16 v3, v[6:7], off
	v_mul_u32_u24_e32 v6, 0x84, v8
	s_delay_alu instid0(VALU_DEP_1)
	v_add3_u32 v6, v12, s6, v6
	s_waitcnt vmcnt(0)
	ds_store_b16 v6, v3 offset:2112
.LBB14_91:
	s_or_b32 exec_lo, exec_lo, s3
	v_add_nc_u32_e32 v6, 24, v2
	s_delay_alu instid0(VALU_DEP_1) | instskip(NEXT) | instid1(VALU_DEP_1)
	v_ashrrev_i32_e32 v7, 31, v6
	v_cmp_gt_i64_e32 vcc_lo, s[10:11], v[6:7]
	s_and_b32 exec_lo, exec_lo, vcc_lo
	s_cbranch_execz .LBB14_93
; %bb.92:
	v_mul_lo_u32 v3, v7, s16
	v_mul_lo_u32 v7, v6, s17
	v_mad_u64_u32 v[16:17], null, v6, s16, 0
	s_delay_alu instid0(VALU_DEP_1) | instskip(SKIP_1) | instid1(VALU_DEP_2)
	v_add3_u32 v17, v17, v7, v3
	v_mul_u32_u24_e32 v3, 0x84, v8
	v_lshlrev_b64 v[6:7], 1, v[16:17]
	s_delay_alu instid0(VALU_DEP_2) | instskip(NEXT) | instid1(VALU_DEP_2)
	v_add3_u32 v3, v12, s6, v3
	v_add_co_u32 v6, vcc_lo, v1, v6
	s_delay_alu instid0(VALU_DEP_3)
	v_add_co_ci_u32_e32 v7, vcc_lo, v15, v7, vcc_lo
	global_load_u16 v1, v[6:7], off
	s_waitcnt vmcnt(0)
	ds_store_b16 v3, v1 offset:3168
.LBB14_93:
	s_or_b32 exec_lo, exec_lo, s7
	v_ashrrev_i32_e32 v1, 31, v0
	v_mad_u32_u24 v6, 0x84, v9, s6
	s_lshl_b64 s[4:5], s[4:5], 1
	s_waitcnt lgkmcnt(0)
	s_waitcnt_vscnt null, 0x0
	v_add_co_u32 v3, s3, v10, s4
	v_cmp_gt_i64_e32 vcc_lo, s[16:17], v[0:1]
	v_add_co_ci_u32_e64 v15, s3, s5, v11, s3
	v_lshl_add_u32 v16, v8, 2, v6
	s_xor_b32 s3, s0, -1
	s_barrier
	s_and_b32 s5, vcc_lo, s3
	buffer_gl0_inv
	s_and_saveexec_b32 s4, s5
	s_cbranch_execz .LBB14_95
; %bb.94:
	v_mul_lo_u32 v1, v1, s10
	v_mul_lo_u32 v17, v0, s11
	v_mad_u64_u32 v[6:7], null, v0, s10, 0
	ds_load_u16 v18, v16
	v_add3_u32 v7, v7, v17, v1
	s_delay_alu instid0(VALU_DEP_1) | instskip(NEXT) | instid1(VALU_DEP_1)
	v_lshlrev_b64 v[6:7], 1, v[6:7]
	v_add_co_u32 v6, vcc_lo, v3, v6
	s_delay_alu instid0(VALU_DEP_2)
	v_add_co_ci_u32_e32 v7, vcc_lo, v15, v7, vcc_lo
	s_waitcnt lgkmcnt(0)
	global_store_b16 v[6:7], v18, off
.LBB14_95:
	s_or_b32 exec_lo, exec_lo, s4
	v_add_nc_u32_e32 v6, 8, v0
	s_delay_alu instid0(VALU_DEP_1) | instskip(NEXT) | instid1(VALU_DEP_1)
	v_ashrrev_i32_e32 v7, 31, v6
	v_cmp_gt_i64_e32 vcc_lo, s[16:17], v[6:7]
	s_and_b32 s5, vcc_lo, s3
	s_delay_alu instid0(SALU_CYCLE_1)
	s_and_saveexec_b32 s4, s5
	s_cbranch_execz .LBB14_97
; %bb.96:
	v_mul_lo_u32 v1, v7, s10
	v_mul_lo_u32 v7, v6, s11
	v_mad_u64_u32 v[17:18], null, v6, s10, 0
	ds_load_u16 v19, v16 offset:32
	v_add3_u32 v18, v18, v7, v1
	s_delay_alu instid0(VALU_DEP_1) | instskip(NEXT) | instid1(VALU_DEP_1)
	v_lshlrev_b64 v[6:7], 1, v[17:18]
	v_add_co_u32 v6, vcc_lo, v3, v6
	s_delay_alu instid0(VALU_DEP_2)
	v_add_co_ci_u32_e32 v7, vcc_lo, v15, v7, vcc_lo
	s_waitcnt lgkmcnt(0)
	global_store_b16 v[6:7], v19, off
.LBB14_97:
	s_or_b32 exec_lo, exec_lo, s4
	v_add_nc_u32_e32 v6, 16, v0
	s_delay_alu instid0(VALU_DEP_1) | instskip(NEXT) | instid1(VALU_DEP_1)
	v_ashrrev_i32_e32 v7, 31, v6
	v_cmp_gt_i64_e32 vcc_lo, s[16:17], v[6:7]
	s_and_b32 s5, vcc_lo, s3
	s_delay_alu instid0(SALU_CYCLE_1)
	s_and_saveexec_b32 s4, s5
	s_cbranch_execz .LBB14_99
; %bb.98:
	v_mul_lo_u32 v1, v7, s10
	v_mul_lo_u32 v7, v6, s11
	v_mad_u64_u32 v[17:18], null, v6, s10, 0
	ds_load_u16 v19, v16 offset:64
	v_add3_u32 v18, v18, v7, v1
	s_delay_alu instid0(VALU_DEP_1) | instskip(NEXT) | instid1(VALU_DEP_1)
	v_lshlrev_b64 v[6:7], 1, v[17:18]
	v_add_co_u32 v6, vcc_lo, v3, v6
	s_delay_alu instid0(VALU_DEP_2)
	v_add_co_ci_u32_e32 v7, vcc_lo, v15, v7, vcc_lo
	s_waitcnt lgkmcnt(0)
	global_store_b16 v[6:7], v19, off
.LBB14_99:
	;; [unrolled: 23-line block ×3, first 2 shown]
	s_or_b32 exec_lo, exec_lo, s3
	s_xor_b32 s9, s9, 1
.LBB14_102:
	s_delay_alu instid0(VALU_DEP_1)
	s_and_not1_b32 vcc_lo, exec_lo, s2
	s_cbranch_vccnz .LBB14_161
; %bb.103:
	s_or_b32 s4, s8, 5
	s_mov_b32 s5, 0
	s_delay_alu instid0(SALU_CYCLE_1)
	v_cmp_ge_u64_e32 vcc_lo, s[4:5], v[4:5]
	v_cmp_lt_u64_e64 s2, s[4:5], v[4:5]
	s_cbranch_vccnz .LBB14_122
; %bb.104:
	s_mul_i32 s3, s19, s4
	s_mul_hi_u32 s5, s18, s4
	s_mul_i32 s4, s18, s4
	s_add_i32 s5, s5, s3
	s_mul_i32 s6, s9, 0x1080
	s_and_saveexec_b32 s7, s1
	s_cbranch_execz .LBB14_113
; %bb.105:
	s_lshl_b64 s[12:13], s[4:5], 1
	v_ashrrev_i32_e32 v3, 31, v2
	v_add_co_u32 v1, s3, v13, s12
	s_delay_alu instid0(VALU_DEP_1) | instskip(SKIP_1) | instid1(VALU_DEP_3)
	v_add_co_ci_u32_e64 v15, s3, s13, v14, s3
	s_mov_b32 s3, exec_lo
	v_cmpx_gt_i64_e64 s[10:11], v[2:3]
	s_cbranch_execz .LBB14_107
; %bb.106:
	v_mul_lo_u32 v3, v3, s16
	v_mul_lo_u32 v16, v2, s17
	v_mad_u64_u32 v[6:7], null, v2, s16, 0
	s_delay_alu instid0(VALU_DEP_1) | instskip(NEXT) | instid1(VALU_DEP_1)
	v_add3_u32 v7, v7, v16, v3
	v_lshlrev_b64 v[6:7], 1, v[6:7]
	s_delay_alu instid0(VALU_DEP_1) | instskip(NEXT) | instid1(VALU_DEP_2)
	v_add_co_u32 v6, vcc_lo, v1, v6
	v_add_co_ci_u32_e32 v7, vcc_lo, v15, v7, vcc_lo
	global_load_u16 v3, v[6:7], off
	v_mul_u32_u24_e32 v6, 0x84, v8
	s_delay_alu instid0(VALU_DEP_1)
	v_add3_u32 v6, v12, s6, v6
	s_waitcnt vmcnt(0)
	ds_store_b16 v6, v3
.LBB14_107:
	s_or_b32 exec_lo, exec_lo, s3
	v_add_nc_u32_e32 v6, 8, v2
	s_mov_b32 s3, exec_lo
	s_delay_alu instid0(VALU_DEP_1) | instskip(NEXT) | instid1(VALU_DEP_1)
	v_ashrrev_i32_e32 v7, 31, v6
	v_cmpx_gt_i64_e64 s[10:11], v[6:7]
	s_cbranch_execz .LBB14_109
; %bb.108:
	v_mul_lo_u32 v3, v7, s16
	v_mul_lo_u32 v7, v6, s17
	v_mad_u64_u32 v[16:17], null, v6, s16, 0
	s_delay_alu instid0(VALU_DEP_1) | instskip(NEXT) | instid1(VALU_DEP_1)
	v_add3_u32 v17, v17, v7, v3
	v_lshlrev_b64 v[6:7], 1, v[16:17]
	s_delay_alu instid0(VALU_DEP_1) | instskip(NEXT) | instid1(VALU_DEP_2)
	v_add_co_u32 v6, vcc_lo, v1, v6
	v_add_co_ci_u32_e32 v7, vcc_lo, v15, v7, vcc_lo
	global_load_u16 v3, v[6:7], off
	v_mul_u32_u24_e32 v6, 0x84, v8
	s_delay_alu instid0(VALU_DEP_1)
	v_add3_u32 v6, v12, s6, v6
	s_waitcnt vmcnt(0)
	ds_store_b16 v6, v3 offset:1056
.LBB14_109:
	s_or_b32 exec_lo, exec_lo, s3
	v_add_nc_u32_e32 v6, 16, v2
	s_mov_b32 s3, exec_lo
	s_delay_alu instid0(VALU_DEP_1) | instskip(NEXT) | instid1(VALU_DEP_1)
	v_ashrrev_i32_e32 v7, 31, v6
	v_cmpx_gt_i64_e64 s[10:11], v[6:7]
	s_cbranch_execz .LBB14_111
; %bb.110:
	v_mul_lo_u32 v3, v7, s16
	v_mul_lo_u32 v7, v6, s17
	v_mad_u64_u32 v[16:17], null, v6, s16, 0
	s_delay_alu instid0(VALU_DEP_1) | instskip(NEXT) | instid1(VALU_DEP_1)
	v_add3_u32 v17, v17, v7, v3
	v_lshlrev_b64 v[6:7], 1, v[16:17]
	s_delay_alu instid0(VALU_DEP_1) | instskip(NEXT) | instid1(VALU_DEP_2)
	v_add_co_u32 v6, vcc_lo, v1, v6
	v_add_co_ci_u32_e32 v7, vcc_lo, v15, v7, vcc_lo
	global_load_u16 v3, v[6:7], off
	v_mul_u32_u24_e32 v6, 0x84, v8
	s_delay_alu instid0(VALU_DEP_1)
	v_add3_u32 v6, v12, s6, v6
	s_waitcnt vmcnt(0)
	ds_store_b16 v6, v3 offset:2112
.LBB14_111:
	s_or_b32 exec_lo, exec_lo, s3
	v_add_nc_u32_e32 v6, 24, v2
	s_delay_alu instid0(VALU_DEP_1) | instskip(NEXT) | instid1(VALU_DEP_1)
	v_ashrrev_i32_e32 v7, 31, v6
	v_cmp_gt_i64_e32 vcc_lo, s[10:11], v[6:7]
	s_and_b32 exec_lo, exec_lo, vcc_lo
	s_cbranch_execz .LBB14_113
; %bb.112:
	v_mul_lo_u32 v3, v7, s16
	v_mul_lo_u32 v7, v6, s17
	v_mad_u64_u32 v[16:17], null, v6, s16, 0
	s_delay_alu instid0(VALU_DEP_1) | instskip(SKIP_1) | instid1(VALU_DEP_2)
	v_add3_u32 v17, v17, v7, v3
	v_mul_u32_u24_e32 v3, 0x84, v8
	v_lshlrev_b64 v[6:7], 1, v[16:17]
	s_delay_alu instid0(VALU_DEP_2) | instskip(NEXT) | instid1(VALU_DEP_2)
	v_add3_u32 v3, v12, s6, v3
	v_add_co_u32 v6, vcc_lo, v1, v6
	s_delay_alu instid0(VALU_DEP_3)
	v_add_co_ci_u32_e32 v7, vcc_lo, v15, v7, vcc_lo
	global_load_u16 v1, v[6:7], off
	s_waitcnt vmcnt(0)
	ds_store_b16 v3, v1 offset:3168
.LBB14_113:
	s_or_b32 exec_lo, exec_lo, s7
	v_ashrrev_i32_e32 v1, 31, v0
	v_mad_u32_u24 v6, 0x84, v9, s6
	s_lshl_b64 s[4:5], s[4:5], 1
	s_waitcnt lgkmcnt(0)
	s_waitcnt_vscnt null, 0x0
	v_add_co_u32 v3, s3, v10, s4
	v_cmp_gt_i64_e32 vcc_lo, s[16:17], v[0:1]
	v_add_co_ci_u32_e64 v15, s3, s5, v11, s3
	v_lshl_add_u32 v16, v8, 2, v6
	s_xor_b32 s3, s0, -1
	s_barrier
	s_and_b32 s5, vcc_lo, s3
	buffer_gl0_inv
	s_and_saveexec_b32 s4, s5
	s_cbranch_execz .LBB14_115
; %bb.114:
	v_mul_lo_u32 v1, v1, s10
	v_mul_lo_u32 v17, v0, s11
	v_mad_u64_u32 v[6:7], null, v0, s10, 0
	ds_load_u16 v18, v16
	v_add3_u32 v7, v7, v17, v1
	s_delay_alu instid0(VALU_DEP_1) | instskip(NEXT) | instid1(VALU_DEP_1)
	v_lshlrev_b64 v[6:7], 1, v[6:7]
	v_add_co_u32 v6, vcc_lo, v3, v6
	s_delay_alu instid0(VALU_DEP_2)
	v_add_co_ci_u32_e32 v7, vcc_lo, v15, v7, vcc_lo
	s_waitcnt lgkmcnt(0)
	global_store_b16 v[6:7], v18, off
.LBB14_115:
	s_or_b32 exec_lo, exec_lo, s4
	v_add_nc_u32_e32 v6, 8, v0
	s_delay_alu instid0(VALU_DEP_1) | instskip(NEXT) | instid1(VALU_DEP_1)
	v_ashrrev_i32_e32 v7, 31, v6
	v_cmp_gt_i64_e32 vcc_lo, s[16:17], v[6:7]
	s_and_b32 s5, vcc_lo, s3
	s_delay_alu instid0(SALU_CYCLE_1)
	s_and_saveexec_b32 s4, s5
	s_cbranch_execz .LBB14_117
; %bb.116:
	v_mul_lo_u32 v1, v7, s10
	v_mul_lo_u32 v7, v6, s11
	v_mad_u64_u32 v[17:18], null, v6, s10, 0
	ds_load_u16 v19, v16 offset:32
	v_add3_u32 v18, v18, v7, v1
	s_delay_alu instid0(VALU_DEP_1) | instskip(NEXT) | instid1(VALU_DEP_1)
	v_lshlrev_b64 v[6:7], 1, v[17:18]
	v_add_co_u32 v6, vcc_lo, v3, v6
	s_delay_alu instid0(VALU_DEP_2)
	v_add_co_ci_u32_e32 v7, vcc_lo, v15, v7, vcc_lo
	s_waitcnt lgkmcnt(0)
	global_store_b16 v[6:7], v19, off
.LBB14_117:
	s_or_b32 exec_lo, exec_lo, s4
	v_add_nc_u32_e32 v6, 16, v0
	s_delay_alu instid0(VALU_DEP_1) | instskip(NEXT) | instid1(VALU_DEP_1)
	v_ashrrev_i32_e32 v7, 31, v6
	v_cmp_gt_i64_e32 vcc_lo, s[16:17], v[6:7]
	s_and_b32 s5, vcc_lo, s3
	s_delay_alu instid0(SALU_CYCLE_1)
	s_and_saveexec_b32 s4, s5
	s_cbranch_execz .LBB14_119
; %bb.118:
	v_mul_lo_u32 v1, v7, s10
	v_mul_lo_u32 v7, v6, s11
	v_mad_u64_u32 v[17:18], null, v6, s10, 0
	ds_load_u16 v19, v16 offset:64
	v_add3_u32 v18, v18, v7, v1
	s_delay_alu instid0(VALU_DEP_1) | instskip(NEXT) | instid1(VALU_DEP_1)
	v_lshlrev_b64 v[6:7], 1, v[17:18]
	v_add_co_u32 v6, vcc_lo, v3, v6
	s_delay_alu instid0(VALU_DEP_2)
	v_add_co_ci_u32_e32 v7, vcc_lo, v15, v7, vcc_lo
	s_waitcnt lgkmcnt(0)
	global_store_b16 v[6:7], v19, off
.LBB14_119:
	s_or_b32 exec_lo, exec_lo, s4
	v_add_nc_u32_e32 v6, 24, v0
	s_delay_alu instid0(VALU_DEP_1) | instskip(NEXT) | instid1(VALU_DEP_1)
	v_ashrrev_i32_e32 v7, 31, v6
	v_cmp_gt_i64_e32 vcc_lo, s[16:17], v[6:7]
	s_and_b32 s4, vcc_lo, s3
	s_delay_alu instid0(SALU_CYCLE_1)
	s_and_saveexec_b32 s3, s4
	s_cbranch_execz .LBB14_121
; %bb.120:
	v_mul_lo_u32 v1, v7, s10
	v_mul_lo_u32 v7, v6, s11
	v_mad_u64_u32 v[17:18], null, v6, s10, 0
	ds_load_u16 v16, v16 offset:96
	v_add3_u32 v18, v18, v7, v1
	s_delay_alu instid0(VALU_DEP_1) | instskip(NEXT) | instid1(VALU_DEP_1)
	v_lshlrev_b64 v[6:7], 1, v[17:18]
	v_add_co_u32 v6, vcc_lo, v3, v6
	s_delay_alu instid0(VALU_DEP_2)
	v_add_co_ci_u32_e32 v7, vcc_lo, v15, v7, vcc_lo
	s_waitcnt lgkmcnt(0)
	global_store_b16 v[6:7], v16, off
.LBB14_121:
	s_or_b32 exec_lo, exec_lo, s3
	s_xor_b32 s9, s9, 1
.LBB14_122:
	s_delay_alu instid0(VALU_DEP_1)
	s_and_not1_b32 vcc_lo, exec_lo, s2
	s_cbranch_vccnz .LBB14_161
; %bb.123:
	s_or_b32 s4, s8, 6
	s_mov_b32 s5, 0
	s_delay_alu instid0(SALU_CYCLE_1)
	v_cmp_ge_u64_e32 vcc_lo, s[4:5], v[4:5]
	v_cmp_lt_u64_e64 s2, s[4:5], v[4:5]
	s_cbranch_vccnz .LBB14_142
; %bb.124:
	s_mul_i32 s3, s19, s4
	s_mul_hi_u32 s5, s18, s4
	s_mul_i32 s4, s18, s4
	s_add_i32 s5, s5, s3
	s_mul_i32 s6, s9, 0x1080
	s_and_saveexec_b32 s7, s1
	s_cbranch_execz .LBB14_133
; %bb.125:
	s_lshl_b64 s[12:13], s[4:5], 1
	v_ashrrev_i32_e32 v3, 31, v2
	v_add_co_u32 v1, s3, v13, s12
	s_delay_alu instid0(VALU_DEP_1) | instskip(SKIP_1) | instid1(VALU_DEP_3)
	v_add_co_ci_u32_e64 v15, s3, s13, v14, s3
	s_mov_b32 s3, exec_lo
	v_cmpx_gt_i64_e64 s[10:11], v[2:3]
	s_cbranch_execz .LBB14_127
; %bb.126:
	v_mul_lo_u32 v3, v3, s16
	v_mul_lo_u32 v16, v2, s17
	v_mad_u64_u32 v[6:7], null, v2, s16, 0
	s_delay_alu instid0(VALU_DEP_1) | instskip(NEXT) | instid1(VALU_DEP_1)
	v_add3_u32 v7, v7, v16, v3
	v_lshlrev_b64 v[6:7], 1, v[6:7]
	s_delay_alu instid0(VALU_DEP_1) | instskip(NEXT) | instid1(VALU_DEP_2)
	v_add_co_u32 v6, vcc_lo, v1, v6
	v_add_co_ci_u32_e32 v7, vcc_lo, v15, v7, vcc_lo
	global_load_u16 v3, v[6:7], off
	v_mul_u32_u24_e32 v6, 0x84, v8
	s_delay_alu instid0(VALU_DEP_1)
	v_add3_u32 v6, v12, s6, v6
	s_waitcnt vmcnt(0)
	ds_store_b16 v6, v3
.LBB14_127:
	s_or_b32 exec_lo, exec_lo, s3
	v_add_nc_u32_e32 v6, 8, v2
	s_mov_b32 s3, exec_lo
	s_delay_alu instid0(VALU_DEP_1) | instskip(NEXT) | instid1(VALU_DEP_1)
	v_ashrrev_i32_e32 v7, 31, v6
	v_cmpx_gt_i64_e64 s[10:11], v[6:7]
	s_cbranch_execz .LBB14_129
; %bb.128:
	v_mul_lo_u32 v3, v7, s16
	v_mul_lo_u32 v7, v6, s17
	v_mad_u64_u32 v[16:17], null, v6, s16, 0
	s_delay_alu instid0(VALU_DEP_1) | instskip(NEXT) | instid1(VALU_DEP_1)
	v_add3_u32 v17, v17, v7, v3
	v_lshlrev_b64 v[6:7], 1, v[16:17]
	s_delay_alu instid0(VALU_DEP_1) | instskip(NEXT) | instid1(VALU_DEP_2)
	v_add_co_u32 v6, vcc_lo, v1, v6
	v_add_co_ci_u32_e32 v7, vcc_lo, v15, v7, vcc_lo
	global_load_u16 v3, v[6:7], off
	v_mul_u32_u24_e32 v6, 0x84, v8
	s_delay_alu instid0(VALU_DEP_1)
	v_add3_u32 v6, v12, s6, v6
	s_waitcnt vmcnt(0)
	ds_store_b16 v6, v3 offset:1056
.LBB14_129:
	s_or_b32 exec_lo, exec_lo, s3
	v_add_nc_u32_e32 v6, 16, v2
	s_mov_b32 s3, exec_lo
	s_delay_alu instid0(VALU_DEP_1) | instskip(NEXT) | instid1(VALU_DEP_1)
	v_ashrrev_i32_e32 v7, 31, v6
	v_cmpx_gt_i64_e64 s[10:11], v[6:7]
	s_cbranch_execz .LBB14_131
; %bb.130:
	v_mul_lo_u32 v3, v7, s16
	v_mul_lo_u32 v7, v6, s17
	v_mad_u64_u32 v[16:17], null, v6, s16, 0
	s_delay_alu instid0(VALU_DEP_1) | instskip(NEXT) | instid1(VALU_DEP_1)
	v_add3_u32 v17, v17, v7, v3
	v_lshlrev_b64 v[6:7], 1, v[16:17]
	s_delay_alu instid0(VALU_DEP_1) | instskip(NEXT) | instid1(VALU_DEP_2)
	v_add_co_u32 v6, vcc_lo, v1, v6
	v_add_co_ci_u32_e32 v7, vcc_lo, v15, v7, vcc_lo
	global_load_u16 v3, v[6:7], off
	v_mul_u32_u24_e32 v6, 0x84, v8
	s_delay_alu instid0(VALU_DEP_1)
	v_add3_u32 v6, v12, s6, v6
	s_waitcnt vmcnt(0)
	ds_store_b16 v6, v3 offset:2112
.LBB14_131:
	s_or_b32 exec_lo, exec_lo, s3
	v_add_nc_u32_e32 v6, 24, v2
	s_delay_alu instid0(VALU_DEP_1) | instskip(NEXT) | instid1(VALU_DEP_1)
	v_ashrrev_i32_e32 v7, 31, v6
	v_cmp_gt_i64_e32 vcc_lo, s[10:11], v[6:7]
	s_and_b32 exec_lo, exec_lo, vcc_lo
	s_cbranch_execz .LBB14_133
; %bb.132:
	v_mul_lo_u32 v3, v7, s16
	v_mul_lo_u32 v7, v6, s17
	v_mad_u64_u32 v[16:17], null, v6, s16, 0
	s_delay_alu instid0(VALU_DEP_1) | instskip(SKIP_1) | instid1(VALU_DEP_2)
	v_add3_u32 v17, v17, v7, v3
	v_mul_u32_u24_e32 v3, 0x84, v8
	v_lshlrev_b64 v[6:7], 1, v[16:17]
	s_delay_alu instid0(VALU_DEP_2) | instskip(NEXT) | instid1(VALU_DEP_2)
	v_add3_u32 v3, v12, s6, v3
	v_add_co_u32 v6, vcc_lo, v1, v6
	s_delay_alu instid0(VALU_DEP_3)
	v_add_co_ci_u32_e32 v7, vcc_lo, v15, v7, vcc_lo
	global_load_u16 v1, v[6:7], off
	s_waitcnt vmcnt(0)
	ds_store_b16 v3, v1 offset:3168
.LBB14_133:
	s_or_b32 exec_lo, exec_lo, s7
	v_ashrrev_i32_e32 v1, 31, v0
	v_mad_u32_u24 v6, 0x84, v9, s6
	s_lshl_b64 s[4:5], s[4:5], 1
	s_waitcnt lgkmcnt(0)
	s_waitcnt_vscnt null, 0x0
	v_add_co_u32 v3, s3, v10, s4
	v_cmp_gt_i64_e32 vcc_lo, s[16:17], v[0:1]
	v_add_co_ci_u32_e64 v15, s3, s5, v11, s3
	v_lshl_add_u32 v16, v8, 2, v6
	s_xor_b32 s3, s0, -1
	s_barrier
	s_and_b32 s5, vcc_lo, s3
	buffer_gl0_inv
	s_and_saveexec_b32 s4, s5
	s_cbranch_execz .LBB14_135
; %bb.134:
	v_mul_lo_u32 v1, v1, s10
	v_mul_lo_u32 v17, v0, s11
	v_mad_u64_u32 v[6:7], null, v0, s10, 0
	ds_load_u16 v18, v16
	v_add3_u32 v7, v7, v17, v1
	s_delay_alu instid0(VALU_DEP_1) | instskip(NEXT) | instid1(VALU_DEP_1)
	v_lshlrev_b64 v[6:7], 1, v[6:7]
	v_add_co_u32 v6, vcc_lo, v3, v6
	s_delay_alu instid0(VALU_DEP_2)
	v_add_co_ci_u32_e32 v7, vcc_lo, v15, v7, vcc_lo
	s_waitcnt lgkmcnt(0)
	global_store_b16 v[6:7], v18, off
.LBB14_135:
	s_or_b32 exec_lo, exec_lo, s4
	v_add_nc_u32_e32 v6, 8, v0
	s_delay_alu instid0(VALU_DEP_1) | instskip(NEXT) | instid1(VALU_DEP_1)
	v_ashrrev_i32_e32 v7, 31, v6
	v_cmp_gt_i64_e32 vcc_lo, s[16:17], v[6:7]
	s_and_b32 s5, vcc_lo, s3
	s_delay_alu instid0(SALU_CYCLE_1)
	s_and_saveexec_b32 s4, s5
	s_cbranch_execz .LBB14_137
; %bb.136:
	v_mul_lo_u32 v1, v7, s10
	v_mul_lo_u32 v7, v6, s11
	v_mad_u64_u32 v[17:18], null, v6, s10, 0
	ds_load_u16 v19, v16 offset:32
	v_add3_u32 v18, v18, v7, v1
	s_delay_alu instid0(VALU_DEP_1) | instskip(NEXT) | instid1(VALU_DEP_1)
	v_lshlrev_b64 v[6:7], 1, v[17:18]
	v_add_co_u32 v6, vcc_lo, v3, v6
	s_delay_alu instid0(VALU_DEP_2)
	v_add_co_ci_u32_e32 v7, vcc_lo, v15, v7, vcc_lo
	s_waitcnt lgkmcnt(0)
	global_store_b16 v[6:7], v19, off
.LBB14_137:
	s_or_b32 exec_lo, exec_lo, s4
	v_add_nc_u32_e32 v6, 16, v0
	s_delay_alu instid0(VALU_DEP_1) | instskip(NEXT) | instid1(VALU_DEP_1)
	v_ashrrev_i32_e32 v7, 31, v6
	v_cmp_gt_i64_e32 vcc_lo, s[16:17], v[6:7]
	s_and_b32 s5, vcc_lo, s3
	s_delay_alu instid0(SALU_CYCLE_1)
	s_and_saveexec_b32 s4, s5
	s_cbranch_execz .LBB14_139
; %bb.138:
	v_mul_lo_u32 v1, v7, s10
	v_mul_lo_u32 v7, v6, s11
	v_mad_u64_u32 v[17:18], null, v6, s10, 0
	ds_load_u16 v19, v16 offset:64
	v_add3_u32 v18, v18, v7, v1
	s_delay_alu instid0(VALU_DEP_1) | instskip(NEXT) | instid1(VALU_DEP_1)
	v_lshlrev_b64 v[6:7], 1, v[17:18]
	v_add_co_u32 v6, vcc_lo, v3, v6
	s_delay_alu instid0(VALU_DEP_2)
	v_add_co_ci_u32_e32 v7, vcc_lo, v15, v7, vcc_lo
	s_waitcnt lgkmcnt(0)
	global_store_b16 v[6:7], v19, off
.LBB14_139:
	;; [unrolled: 23-line block ×3, first 2 shown]
	s_or_b32 exec_lo, exec_lo, s3
	s_xor_b32 s9, s9, 1
.LBB14_142:
	s_delay_alu instid0(VALU_DEP_1)
	s_and_not1_b32 vcc_lo, exec_lo, s2
	s_cbranch_vccnz .LBB14_161
; %bb.143:
	s_or_b32 s2, s8, 7
	s_mov_b32 s3, 0
	s_delay_alu instid0(SALU_CYCLE_1)
	v_cmp_ge_u64_e32 vcc_lo, s[2:3], v[4:5]
	s_cbranch_vccnz .LBB14_161
; %bb.144:
	s_mul_i32 s3, s19, s2
	s_mul_hi_u32 s4, s18, s2
	s_mul_i32 s2, s18, s2
	s_add_i32 s3, s4, s3
	s_mul_i32 s4, s9, 0x1080
	s_and_saveexec_b32 s5, s1
	s_cbranch_execz .LBB14_153
; %bb.145:
	s_lshl_b64 s[6:7], s[2:3], 1
	v_ashrrev_i32_e32 v3, 31, v2
	v_add_co_u32 v6, vcc_lo, v13, s6
	v_add_co_ci_u32_e32 v7, vcc_lo, s7, v14, vcc_lo
	v_mul_u32_u24_e32 v5, 0x84, v8
	s_mov_b32 s1, exec_lo
	v_cmpx_gt_i64_e64 s[10:11], v[2:3]
	s_cbranch_execz .LBB14_147
; %bb.146:
	v_mul_lo_u32 v1, v3, s16
	v_mul_lo_u32 v13, v2, s17
	v_mad_u64_u32 v[3:4], null, v2, s16, 0
	s_delay_alu instid0(VALU_DEP_1) | instskip(NEXT) | instid1(VALU_DEP_1)
	v_add3_u32 v4, v4, v13, v1
	v_lshlrev_b64 v[3:4], 1, v[3:4]
	s_delay_alu instid0(VALU_DEP_1) | instskip(NEXT) | instid1(VALU_DEP_2)
	v_add_co_u32 v3, vcc_lo, v6, v3
	v_add_co_ci_u32_e32 v4, vcc_lo, v7, v4, vcc_lo
	global_load_u16 v1, v[3:4], off
	v_add3_u32 v3, v12, s4, v5
	s_waitcnt vmcnt(0)
	ds_store_b16 v3, v1
.LBB14_147:
	s_or_b32 exec_lo, exec_lo, s1
	v_add_nc_u32_e32 v3, 8, v2
	s_mov_b32 s1, exec_lo
	s_delay_alu instid0(VALU_DEP_1) | instskip(NEXT) | instid1(VALU_DEP_1)
	v_ashrrev_i32_e32 v4, 31, v3
	v_cmpx_gt_i64_e64 s[10:11], v[3:4]
	s_cbranch_execz .LBB14_149
; %bb.148:
	v_mul_lo_u32 v1, v4, s16
	v_mul_lo_u32 v4, v3, s17
	v_mad_u64_u32 v[13:14], null, v3, s16, 0
	s_delay_alu instid0(VALU_DEP_1) | instskip(NEXT) | instid1(VALU_DEP_1)
	v_add3_u32 v14, v14, v4, v1
	v_lshlrev_b64 v[3:4], 1, v[13:14]
	s_delay_alu instid0(VALU_DEP_1) | instskip(NEXT) | instid1(VALU_DEP_2)
	v_add_co_u32 v3, vcc_lo, v6, v3
	v_add_co_ci_u32_e32 v4, vcc_lo, v7, v4, vcc_lo
	global_load_u16 v1, v[3:4], off
	v_add3_u32 v3, v12, s4, v5
	s_waitcnt vmcnt(0)
	ds_store_b16 v3, v1 offset:1056
.LBB14_149:
	s_or_b32 exec_lo, exec_lo, s1
	v_add_nc_u32_e32 v3, 16, v2
	s_mov_b32 s1, exec_lo
	s_delay_alu instid0(VALU_DEP_1) | instskip(NEXT) | instid1(VALU_DEP_1)
	v_ashrrev_i32_e32 v4, 31, v3
	v_cmpx_gt_i64_e64 s[10:11], v[3:4]
	s_cbranch_execz .LBB14_151
; %bb.150:
	v_mul_lo_u32 v1, v4, s16
	v_mul_lo_u32 v4, v3, s17
	v_mad_u64_u32 v[13:14], null, v3, s16, 0
	s_delay_alu instid0(VALU_DEP_1) | instskip(NEXT) | instid1(VALU_DEP_1)
	v_add3_u32 v14, v14, v4, v1
	v_lshlrev_b64 v[3:4], 1, v[13:14]
	s_delay_alu instid0(VALU_DEP_1) | instskip(NEXT) | instid1(VALU_DEP_2)
	v_add_co_u32 v3, vcc_lo, v6, v3
	v_add_co_ci_u32_e32 v4, vcc_lo, v7, v4, vcc_lo
	global_load_u16 v1, v[3:4], off
	v_add3_u32 v3, v12, s4, v5
	s_waitcnt vmcnt(0)
	ds_store_b16 v3, v1 offset:2112
.LBB14_151:
	s_or_b32 exec_lo, exec_lo, s1
	v_add_nc_u32_e32 v1, 24, v2
	s_delay_alu instid0(VALU_DEP_1) | instskip(NEXT) | instid1(VALU_DEP_1)
	v_ashrrev_i32_e32 v2, 31, v1
	v_cmp_gt_i64_e32 vcc_lo, s[10:11], v[1:2]
	s_and_b32 exec_lo, exec_lo, vcc_lo
	s_cbranch_execz .LBB14_153
; %bb.152:
	v_mul_lo_u32 v4, v2, s16
	v_mul_lo_u32 v13, v1, s17
	v_mad_u64_u32 v[2:3], null, v1, s16, 0
	s_delay_alu instid0(VALU_DEP_1) | instskip(NEXT) | instid1(VALU_DEP_1)
	v_add3_u32 v3, v3, v13, v4
	v_lshlrev_b64 v[1:2], 1, v[2:3]
	s_delay_alu instid0(VALU_DEP_1) | instskip(NEXT) | instid1(VALU_DEP_2)
	v_add_co_u32 v1, vcc_lo, v6, v1
	v_add_co_ci_u32_e32 v2, vcc_lo, v7, v2, vcc_lo
	global_load_u16 v1, v[1:2], off
	v_add3_u32 v2, v12, s4, v5
	s_waitcnt vmcnt(0)
	ds_store_b16 v2, v1 offset:3168
.LBB14_153:
	s_or_b32 exec_lo, exec_lo, s5
	v_ashrrev_i32_e32 v1, 31, v0
	v_mad_u32_u24 v2, 0x84, v9, s4
	s_lshl_b64 s[2:3], s[2:3], 1
	s_xor_b32 s0, s0, -1
	v_add_co_u32 v3, s1, v10, s2
	v_cmp_gt_i64_e32 vcc_lo, s[16:17], v[0:1]
	v_add_co_ci_u32_e64 v4, s1, s3, v11, s1
	v_lshl_add_u32 v5, v8, 2, v2
	s_waitcnt lgkmcnt(0)
	s_waitcnt_vscnt null, 0x0
	s_barrier
	s_and_b32 s2, vcc_lo, s0
	buffer_gl0_inv
	s_and_saveexec_b32 s1, s2
	s_cbranch_execz .LBB14_155
; %bb.154:
	v_mul_lo_u32 v6, v1, s10
	v_mul_lo_u32 v7, v0, s11
	v_mad_u64_u32 v[1:2], null, v0, s10, 0
	ds_load_u16 v8, v5
	v_add3_u32 v2, v2, v7, v6
	s_delay_alu instid0(VALU_DEP_1) | instskip(NEXT) | instid1(VALU_DEP_1)
	v_lshlrev_b64 v[1:2], 1, v[1:2]
	v_add_co_u32 v1, vcc_lo, v3, v1
	s_delay_alu instid0(VALU_DEP_2)
	v_add_co_ci_u32_e32 v2, vcc_lo, v4, v2, vcc_lo
	s_waitcnt lgkmcnt(0)
	global_store_b16 v[1:2], v8, off
.LBB14_155:
	s_or_b32 exec_lo, exec_lo, s1
	v_add_nc_u32_e32 v1, 8, v0
	s_delay_alu instid0(VALU_DEP_1) | instskip(NEXT) | instid1(VALU_DEP_1)
	v_ashrrev_i32_e32 v2, 31, v1
	v_cmp_gt_i64_e32 vcc_lo, s[16:17], v[1:2]
	s_and_b32 s2, vcc_lo, s0
	s_delay_alu instid0(SALU_CYCLE_1)
	s_and_saveexec_b32 s1, s2
	s_cbranch_execz .LBB14_157
; %bb.156:
	v_mul_lo_u32 v2, v2, s10
	v_mul_lo_u32 v8, v1, s11
	v_mad_u64_u32 v[6:7], null, v1, s10, 0
	ds_load_u16 v9, v5 offset:32
	v_add3_u32 v7, v7, v8, v2
	s_delay_alu instid0(VALU_DEP_1) | instskip(NEXT) | instid1(VALU_DEP_1)
	v_lshlrev_b64 v[1:2], 1, v[6:7]
	v_add_co_u32 v1, vcc_lo, v3, v1
	s_delay_alu instid0(VALU_DEP_2)
	v_add_co_ci_u32_e32 v2, vcc_lo, v4, v2, vcc_lo
	s_waitcnt lgkmcnt(0)
	global_store_b16 v[1:2], v9, off
.LBB14_157:
	s_or_b32 exec_lo, exec_lo, s1
	v_add_nc_u32_e32 v1, 16, v0
	s_delay_alu instid0(VALU_DEP_1) | instskip(NEXT) | instid1(VALU_DEP_1)
	v_ashrrev_i32_e32 v2, 31, v1
	v_cmp_gt_i64_e32 vcc_lo, s[16:17], v[1:2]
	s_and_b32 s2, vcc_lo, s0
	s_delay_alu instid0(SALU_CYCLE_1)
	s_and_saveexec_b32 s1, s2
	s_cbranch_execz .LBB14_159
; %bb.158:
	v_mul_lo_u32 v2, v2, s10
	v_mul_lo_u32 v8, v1, s11
	v_mad_u64_u32 v[6:7], null, v1, s10, 0
	ds_load_u16 v9, v5 offset:64
	v_add3_u32 v7, v7, v8, v2
	s_delay_alu instid0(VALU_DEP_1) | instskip(NEXT) | instid1(VALU_DEP_1)
	v_lshlrev_b64 v[1:2], 1, v[6:7]
	v_add_co_u32 v1, vcc_lo, v3, v1
	s_delay_alu instid0(VALU_DEP_2)
	v_add_co_ci_u32_e32 v2, vcc_lo, v4, v2, vcc_lo
	s_waitcnt lgkmcnt(0)
	global_store_b16 v[1:2], v9, off
.LBB14_159:
	s_or_b32 exec_lo, exec_lo, s1
	v_add_nc_u32_e32 v0, 24, v0
	s_delay_alu instid0(VALU_DEP_1) | instskip(NEXT) | instid1(VALU_DEP_1)
	v_ashrrev_i32_e32 v1, 31, v0
	v_cmp_gt_i64_e32 vcc_lo, s[16:17], v[0:1]
	s_and_b32 s0, vcc_lo, s0
	s_delay_alu instid0(SALU_CYCLE_1)
	s_and_saveexec_b32 s1, s0
	s_cbranch_execz .LBB14_161
; %bb.160:
	v_mul_lo_u32 v6, v1, s10
	v_mul_lo_u32 v7, v0, s11
	v_mad_u64_u32 v[1:2], null, v0, s10, 0
	ds_load_u16 v5, v5 offset:96
	v_add3_u32 v2, v2, v7, v6
	s_delay_alu instid0(VALU_DEP_1) | instskip(NEXT) | instid1(VALU_DEP_1)
	v_lshlrev_b64 v[0:1], 1, v[1:2]
	v_add_co_u32 v0, vcc_lo, v3, v0
	s_delay_alu instid0(VALU_DEP_2)
	v_add_co_ci_u32_e32 v1, vcc_lo, v4, v1, vcc_lo
	s_waitcnt lgkmcnt(0)
	global_store_b16 v[0:1], v5, off
.LBB14_161:
	s_nop 0
	s_sendmsg sendmsg(MSG_DEALLOC_VGPRS)
	s_endpgm
.LBB14_162:
                                        ; implicit-def: $vgpr4_vgpr5
	s_branch .LBB14_2
	.section	.rodata,"a",@progbits
	.p2align	6, 0x0
	.amdhsa_kernel _ZL20cpy_scalar_transposeI14__hip_bfloat16EvPKcPclllllllllllllll
		.amdhsa_group_segment_fixed_size 8448
		.amdhsa_private_segment_fixed_size 0
		.amdhsa_kernarg_size 136
		.amdhsa_user_sgpr_count 13
		.amdhsa_user_sgpr_dispatch_ptr 0
		.amdhsa_user_sgpr_queue_ptr 0
		.amdhsa_user_sgpr_kernarg_segment_ptr 1
		.amdhsa_user_sgpr_dispatch_id 0
		.amdhsa_user_sgpr_private_segment_size 0
		.amdhsa_wavefront_size32 1
		.amdhsa_uses_dynamic_stack 0
		.amdhsa_enable_private_segment 0
		.amdhsa_system_sgpr_workgroup_id_x 1
		.amdhsa_system_sgpr_workgroup_id_y 1
		.amdhsa_system_sgpr_workgroup_id_z 1
		.amdhsa_system_sgpr_workgroup_info 0
		.amdhsa_system_vgpr_workitem_id 1
		.amdhsa_next_free_vgpr 20
		.amdhsa_next_free_sgpr 30
		.amdhsa_reserve_vcc 1
		.amdhsa_float_round_mode_32 0
		.amdhsa_float_round_mode_16_64 0
		.amdhsa_float_denorm_mode_32 3
		.amdhsa_float_denorm_mode_16_64 3
		.amdhsa_dx10_clamp 1
		.amdhsa_ieee_mode 1
		.amdhsa_fp16_overflow 0
		.amdhsa_workgroup_processor_mode 1
		.amdhsa_memory_ordered 1
		.amdhsa_forward_progress 0
		.amdhsa_shared_vgpr_count 0
		.amdhsa_exception_fp_ieee_invalid_op 0
		.amdhsa_exception_fp_denorm_src 0
		.amdhsa_exception_fp_ieee_div_zero 0
		.amdhsa_exception_fp_ieee_overflow 0
		.amdhsa_exception_fp_ieee_underflow 0
		.amdhsa_exception_fp_ieee_inexact 0
		.amdhsa_exception_int_div_zero 0
	.end_amdhsa_kernel
	.section	.text._ZL20cpy_scalar_transposeI14__hip_bfloat16EvPKcPclllllllllllllll,"axG",@progbits,_ZL20cpy_scalar_transposeI14__hip_bfloat16EvPKcPclllllllllllllll,comdat
.Lfunc_end14:
	.size	_ZL20cpy_scalar_transposeI14__hip_bfloat16EvPKcPclllllllllllllll, .Lfunc_end14-_ZL20cpy_scalar_transposeI14__hip_bfloat16EvPKcPclllllllllllllll
                                        ; -- End function
	.section	.AMDGPU.csdata,"",@progbits
; Kernel info:
; codeLenInByte = 9872
; NumSgprs: 32
; NumVgprs: 20
; ScratchSize: 0
; MemoryBound: 0
; FloatMode: 240
; IeeeMode: 1
; LDSByteSize: 8448 bytes/workgroup (compile time only)
; SGPRBlocks: 3
; VGPRBlocks: 2
; NumSGPRsForWavesPerEU: 32
; NumVGPRsForWavesPerEU: 20
; Occupancy: 16
; WaveLimiterHint : 0
; COMPUTE_PGM_RSRC2:SCRATCH_EN: 0
; COMPUTE_PGM_RSRC2:USER_SGPR: 13
; COMPUTE_PGM_RSRC2:TRAP_HANDLER: 0
; COMPUTE_PGM_RSRC2:TGID_X_EN: 1
; COMPUTE_PGM_RSRC2:TGID_Y_EN: 1
; COMPUTE_PGM_RSRC2:TGID_Z_EN: 1
; COMPUTE_PGM_RSRC2:TIDIG_COMP_CNT: 1
	.section	.text._ZL10cpy_scalarIXadL_ZL12cpy_1_scalarIf14__hip_bfloat16EvPKcPcEEEvS3_S4_lllllllllllllll,"axG",@progbits,_ZL10cpy_scalarIXadL_ZL12cpy_1_scalarIf14__hip_bfloat16EvPKcPcEEEvS3_S4_lllllllllllllll,comdat
	.globl	_ZL10cpy_scalarIXadL_ZL12cpy_1_scalarIf14__hip_bfloat16EvPKcPcEEEvS3_S4_lllllllllllllll ; -- Begin function _ZL10cpy_scalarIXadL_ZL12cpy_1_scalarIf14__hip_bfloat16EvPKcPcEEEvS3_S4_lllllllllllllll
	.p2align	8
	.type	_ZL10cpy_scalarIXadL_ZL12cpy_1_scalarIf14__hip_bfloat16EvPKcPcEEEvS3_S4_lllllllllllllll,@function
_ZL10cpy_scalarIXadL_ZL12cpy_1_scalarIf14__hip_bfloat16EvPKcPcEEEvS3_S4_lllllllllllllll: ; @_ZL10cpy_scalarIXadL_ZL12cpy_1_scalarIf14__hip_bfloat16EvPKcPcEEEvS3_S4_lllllllllllllll
; %bb.0:
	s_clause 0x1
	s_load_b32 s2, s[0:1], 0x94
	s_load_b512 s[16:31], s[0:1], 0x0
	v_mov_b32_e32 v2, 0
	s_delay_alu instid0(VALU_DEP_1)
	v_mov_b32_e32 v1, v2
	s_waitcnt lgkmcnt(0)
	s_and_b32 s2, s2, 0xffff
	s_delay_alu instid0(VALU_DEP_1) | instid1(SALU_CYCLE_1)
	v_mad_u64_u32 v[4:5], null, s2, s15, v[0:1]
	s_mov_b32 s2, exec_lo
	s_delay_alu instid0(VALU_DEP_1)
	v_cmpx_gt_i64_e64 s[20:21], v[4:5]
	s_cbranch_execz .LBB15_30
; %bb.1:
	s_mul_i32 s2, s24, s23
	s_mul_hi_u32 s3, s24, s22
	v_ashrrev_i32_e32 v10, 31, v5
	s_add_i32 s8, s3, s2
	s_mul_i32 s3, s24, s22
	s_mul_i32 s2, s25, s22
	s_mul_i32 s4, s3, s27
	s_mul_hi_u32 s5, s3, s26
	s_add_i32 s8, s8, s2
	s_add_i32 s2, s5, s4
	s_mul_i32 s4, s8, s26
	s_mul_i32 s10, s3, s26
	s_add_i32 s9, s2, s4
                                        ; implicit-def: $vgpr0_vgpr1
	s_mov_b32 s2, exec_lo
	v_or_b32_e32 v3, s9, v5
	s_delay_alu instid0(VALU_DEP_1)
	v_cmpx_ne_u64_e32 0, v[2:3]
	s_xor_b32 s11, exec_lo, s2
	s_cbranch_execz .LBB15_3
; %bb.2:
	s_ashr_i32 s4, s9, 31
	s_delay_alu instid0(SALU_CYCLE_1) | instskip(SKIP_2) | instid1(SALU_CYCLE_1)
	s_add_u32 s6, s10, s4
	s_mov_b32 s5, s4
	s_addc_u32 s7, s9, s4
	s_xor_b64 s[6:7], s[6:7], s[4:5]
	s_delay_alu instid0(SALU_CYCLE_1) | instskip(SKIP_3) | instid1(VALU_DEP_1)
	v_cvt_f32_u32_e32 v0, s6
	v_cvt_f32_u32_e32 v1, s7
	s_sub_u32 s2, 0, s6
	s_subb_u32 s5, 0, s7
	v_fmamk_f32 v0, v1, 0x4f800000, v0
	s_delay_alu instid0(VALU_DEP_1) | instskip(SKIP_2) | instid1(VALU_DEP_1)
	v_rcp_f32_e32 v0, v0
	s_waitcnt_depctr 0xfff
	v_mul_f32_e32 v0, 0x5f7ffffc, v0
	v_mul_f32_e32 v1, 0x2f800000, v0
	s_delay_alu instid0(VALU_DEP_1) | instskip(NEXT) | instid1(VALU_DEP_1)
	v_trunc_f32_e32 v1, v1
	v_fmamk_f32 v0, v1, 0xcf800000, v0
	v_cvt_u32_f32_e32 v1, v1
	s_delay_alu instid0(VALU_DEP_2) | instskip(NEXT) | instid1(VALU_DEP_2)
	v_cvt_u32_f32_e32 v0, v0
	v_mul_lo_u32 v2, s2, v1
	s_delay_alu instid0(VALU_DEP_2) | instskip(SKIP_1) | instid1(VALU_DEP_2)
	v_mul_hi_u32 v3, s2, v0
	v_mul_lo_u32 v6, s5, v0
	v_add_nc_u32_e32 v2, v3, v2
	v_mul_lo_u32 v3, s2, v0
	s_delay_alu instid0(VALU_DEP_2) | instskip(NEXT) | instid1(VALU_DEP_2)
	v_add_nc_u32_e32 v2, v2, v6
	v_mul_hi_u32 v6, v0, v3
	s_delay_alu instid0(VALU_DEP_2)
	v_mul_lo_u32 v7, v0, v2
	v_mul_hi_u32 v8, v0, v2
	v_mul_hi_u32 v9, v1, v3
	v_mul_lo_u32 v3, v1, v3
	v_mul_hi_u32 v11, v1, v2
	v_mul_lo_u32 v2, v1, v2
	v_add_co_u32 v6, vcc_lo, v6, v7
	v_add_co_ci_u32_e32 v7, vcc_lo, 0, v8, vcc_lo
	s_delay_alu instid0(VALU_DEP_2) | instskip(NEXT) | instid1(VALU_DEP_2)
	v_add_co_u32 v3, vcc_lo, v6, v3
	v_add_co_ci_u32_e32 v3, vcc_lo, v7, v9, vcc_lo
	v_add_co_ci_u32_e32 v6, vcc_lo, 0, v11, vcc_lo
	s_delay_alu instid0(VALU_DEP_2) | instskip(NEXT) | instid1(VALU_DEP_2)
	v_add_co_u32 v2, vcc_lo, v3, v2
	v_add_co_ci_u32_e32 v3, vcc_lo, 0, v6, vcc_lo
	s_delay_alu instid0(VALU_DEP_2) | instskip(NEXT) | instid1(VALU_DEP_2)
	v_add_co_u32 v0, vcc_lo, v0, v2
	v_add_co_ci_u32_e32 v1, vcc_lo, v1, v3, vcc_lo
	s_delay_alu instid0(VALU_DEP_2) | instskip(SKIP_1) | instid1(VALU_DEP_3)
	v_mul_hi_u32 v2, s2, v0
	v_mul_lo_u32 v6, s5, v0
	v_mul_lo_u32 v3, s2, v1
	s_delay_alu instid0(VALU_DEP_1) | instskip(SKIP_1) | instid1(VALU_DEP_2)
	v_add_nc_u32_e32 v2, v2, v3
	v_mul_lo_u32 v3, s2, v0
	v_add_nc_u32_e32 v2, v2, v6
	s_delay_alu instid0(VALU_DEP_2) | instskip(NEXT) | instid1(VALU_DEP_2)
	v_mul_hi_u32 v6, v0, v3
	v_mul_lo_u32 v7, v0, v2
	v_mul_hi_u32 v8, v0, v2
	v_mul_hi_u32 v9, v1, v3
	v_mul_lo_u32 v3, v1, v3
	v_mul_hi_u32 v11, v1, v2
	v_mul_lo_u32 v2, v1, v2
	v_add_co_u32 v6, vcc_lo, v6, v7
	v_add_co_ci_u32_e32 v7, vcc_lo, 0, v8, vcc_lo
	s_delay_alu instid0(VALU_DEP_2) | instskip(NEXT) | instid1(VALU_DEP_2)
	v_add_co_u32 v3, vcc_lo, v6, v3
	v_add_co_ci_u32_e32 v3, vcc_lo, v7, v9, vcc_lo
	v_add_co_ci_u32_e32 v6, vcc_lo, 0, v11, vcc_lo
	v_add_co_u32 v7, vcc_lo, v4, v10
	v_add_co_ci_u32_e32 v8, vcc_lo, v5, v10, vcc_lo
	s_delay_alu instid0(VALU_DEP_4) | instskip(NEXT) | instid1(VALU_DEP_4)
	v_add_co_u32 v2, vcc_lo, v3, v2
	v_add_co_ci_u32_e32 v3, vcc_lo, 0, v6, vcc_lo
	s_delay_alu instid0(VALU_DEP_4) | instskip(NEXT) | instid1(VALU_DEP_3)
	v_xor_b32_e32 v9, v7, v10
	v_add_co_u32 v6, vcc_lo, v0, v2
	s_delay_alu instid0(VALU_DEP_3) | instskip(SKIP_1) | instid1(VALU_DEP_3)
	v_add_co_ci_u32_e32 v11, vcc_lo, v1, v3, vcc_lo
	v_xor_b32_e32 v8, v8, v10
	v_mul_hi_u32 v12, v9, v6
	s_delay_alu instid0(VALU_DEP_3) | instskip(NEXT) | instid1(VALU_DEP_3)
	v_mad_u64_u32 v[0:1], null, v9, v11, 0
	v_mad_u64_u32 v[2:3], null, v8, v6, 0
	;; [unrolled: 1-line block ×3, first 2 shown]
	s_delay_alu instid0(VALU_DEP_3) | instskip(NEXT) | instid1(VALU_DEP_4)
	v_add_co_u32 v0, vcc_lo, v12, v0
	v_add_co_ci_u32_e32 v1, vcc_lo, 0, v1, vcc_lo
	s_delay_alu instid0(VALU_DEP_2) | instskip(NEXT) | instid1(VALU_DEP_2)
	v_add_co_u32 v0, vcc_lo, v0, v2
	v_add_co_ci_u32_e32 v0, vcc_lo, v1, v3, vcc_lo
	v_add_co_ci_u32_e32 v1, vcc_lo, 0, v7, vcc_lo
	s_delay_alu instid0(VALU_DEP_2) | instskip(NEXT) | instid1(VALU_DEP_2)
	v_add_co_u32 v2, vcc_lo, v0, v6
	v_add_co_ci_u32_e32 v3, vcc_lo, 0, v1, vcc_lo
	s_delay_alu instid0(VALU_DEP_2) | instskip(SKIP_1) | instid1(VALU_DEP_3)
	v_mul_lo_u32 v6, s7, v2
	v_mad_u64_u32 v[0:1], null, s6, v2, 0
	v_mul_lo_u32 v7, s6, v3
	s_delay_alu instid0(VALU_DEP_2) | instskip(NEXT) | instid1(VALU_DEP_2)
	v_sub_co_u32 v0, vcc_lo, v9, v0
	v_add3_u32 v1, v1, v7, v6
	s_delay_alu instid0(VALU_DEP_1) | instskip(NEXT) | instid1(VALU_DEP_1)
	v_sub_nc_u32_e32 v6, v8, v1
	v_subrev_co_ci_u32_e64 v6, s2, s7, v6, vcc_lo
	v_add_co_u32 v7, s2, v2, 2
	s_delay_alu instid0(VALU_DEP_1) | instskip(SKIP_3) | instid1(VALU_DEP_3)
	v_add_co_ci_u32_e64 v9, s2, 0, v3, s2
	v_sub_co_u32 v11, s2, v0, s6
	v_sub_co_ci_u32_e32 v1, vcc_lo, v8, v1, vcc_lo
	v_subrev_co_ci_u32_e64 v6, s2, 0, v6, s2
	v_cmp_le_u32_e32 vcc_lo, s6, v11
	s_delay_alu instid0(VALU_DEP_3) | instskip(SKIP_1) | instid1(VALU_DEP_4)
	v_cmp_eq_u32_e64 s2, s7, v1
	v_cndmask_b32_e64 v8, 0, -1, vcc_lo
	v_cmp_le_u32_e32 vcc_lo, s7, v6
	v_cndmask_b32_e64 v11, 0, -1, vcc_lo
	v_cmp_le_u32_e32 vcc_lo, s6, v0
	;; [unrolled: 2-line block ×3, first 2 shown]
	v_cndmask_b32_e64 v12, 0, -1, vcc_lo
	v_cmp_eq_u32_e32 vcc_lo, s7, v6
	s_delay_alu instid0(VALU_DEP_2) | instskip(SKIP_3) | instid1(VALU_DEP_3)
	v_cndmask_b32_e64 v0, v12, v0, s2
	v_cndmask_b32_e32 v6, v11, v8, vcc_lo
	v_add_co_u32 v8, vcc_lo, v2, 1
	v_add_co_ci_u32_e32 v11, vcc_lo, 0, v3, vcc_lo
	v_cmp_ne_u32_e32 vcc_lo, 0, v6
	s_delay_alu instid0(VALU_DEP_2) | instskip(SKIP_2) | instid1(VALU_DEP_3)
	v_dual_cndmask_b32 v1, v11, v9 :: v_dual_cndmask_b32 v6, v8, v7
	v_cmp_ne_u32_e32 vcc_lo, 0, v0
	v_xor_b32_e32 v7, s4, v10
	v_dual_cndmask_b32 v0, v3, v1 :: v_dual_cndmask_b32 v1, v2, v6
	s_delay_alu instid0(VALU_DEP_1) | instskip(NEXT) | instid1(VALU_DEP_2)
	v_xor_b32_e32 v2, v0, v7
	v_xor_b32_e32 v1, v1, v7
	s_delay_alu instid0(VALU_DEP_1) | instskip(NEXT) | instid1(VALU_DEP_3)
	v_sub_co_u32 v0, vcc_lo, v1, v7
	v_sub_co_ci_u32_e32 v1, vcc_lo, v2, v7, vcc_lo
.LBB15_3:
	s_and_not1_saveexec_b32 s2, s11
	s_cbranch_execz .LBB15_5
; %bb.4:
	v_cvt_f32_u32_e32 v0, s10
	s_sub_i32 s4, 0, s10
	s_delay_alu instid0(VALU_DEP_1) | instskip(SKIP_2) | instid1(VALU_DEP_1)
	v_rcp_iflag_f32_e32 v0, v0
	s_waitcnt_depctr 0xfff
	v_mul_f32_e32 v0, 0x4f7ffffe, v0
	v_cvt_u32_f32_e32 v0, v0
	s_delay_alu instid0(VALU_DEP_1) | instskip(NEXT) | instid1(VALU_DEP_1)
	v_mul_lo_u32 v1, s4, v0
	v_mul_hi_u32 v1, v0, v1
	s_delay_alu instid0(VALU_DEP_1) | instskip(NEXT) | instid1(VALU_DEP_1)
	v_add_nc_u32_e32 v0, v0, v1
	v_mul_hi_u32 v0, v4, v0
	s_delay_alu instid0(VALU_DEP_1) | instskip(SKIP_1) | instid1(VALU_DEP_2)
	v_mul_lo_u32 v1, v0, s10
	v_add_nc_u32_e32 v2, 1, v0
	v_sub_nc_u32_e32 v1, v4, v1
	s_delay_alu instid0(VALU_DEP_1) | instskip(SKIP_1) | instid1(VALU_DEP_2)
	v_subrev_nc_u32_e32 v3, s10, v1
	v_cmp_le_u32_e32 vcc_lo, s10, v1
	v_dual_cndmask_b32 v1, v1, v3 :: v_dual_cndmask_b32 v0, v0, v2
	s_delay_alu instid0(VALU_DEP_1) | instskip(NEXT) | instid1(VALU_DEP_2)
	v_cmp_le_u32_e32 vcc_lo, s10, v1
	v_dual_mov_b32 v1, 0 :: v_dual_add_nc_u32 v2, 1, v0
	s_delay_alu instid0(VALU_DEP_1)
	v_cndmask_b32_e32 v0, v0, v2, vcc_lo
.LBB15_5:
	s_or_b32 exec_lo, exec_lo, s2
	s_delay_alu instid0(VALU_DEP_1) | instskip(NEXT) | instid1(VALU_DEP_2)
	v_mul_lo_u32 v6, s9, v0
	v_mul_lo_u32 v7, s10, v1
	v_mad_u64_u32 v[2:3], null, s10, v0, 0
	s_delay_alu instid0(VALU_DEP_1) | instskip(NEXT) | instid1(VALU_DEP_2)
	v_add3_u32 v3, v3, v7, v6
	v_sub_co_u32 v6, vcc_lo, v4, v2
	v_mov_b32_e32 v2, 0
	s_delay_alu instid0(VALU_DEP_3) | instskip(NEXT) | instid1(VALU_DEP_1)
	v_sub_co_ci_u32_e32 v7, vcc_lo, v5, v3, vcc_lo
	v_or_b32_e32 v3, s8, v7
	s_delay_alu instid0(VALU_DEP_1) | instskip(SKIP_1) | instid1(SALU_CYCLE_1)
	v_cmp_ne_u64_e32 vcc_lo, 0, v[2:3]
                                        ; implicit-def: $vgpr2_vgpr3
	s_and_saveexec_b32 s2, vcc_lo
	s_xor_b32 s9, exec_lo, s2
	s_cbranch_execz .LBB15_7
; %bb.6:
	s_ashr_i32 s4, s8, 31
	s_delay_alu instid0(SALU_CYCLE_1) | instskip(SKIP_2) | instid1(SALU_CYCLE_1)
	s_add_u32 s6, s3, s4
	s_mov_b32 s5, s4
	s_addc_u32 s7, s8, s4
	s_xor_b64 s[6:7], s[6:7], s[4:5]
	s_delay_alu instid0(SALU_CYCLE_1) | instskip(SKIP_3) | instid1(VALU_DEP_1)
	v_cvt_f32_u32_e32 v2, s6
	v_cvt_f32_u32_e32 v3, s7
	s_sub_u32 s2, 0, s6
	s_subb_u32 s5, 0, s7
	v_fmamk_f32 v2, v3, 0x4f800000, v2
	s_delay_alu instid0(VALU_DEP_1) | instskip(SKIP_2) | instid1(VALU_DEP_1)
	v_rcp_f32_e32 v2, v2
	s_waitcnt_depctr 0xfff
	v_mul_f32_e32 v2, 0x5f7ffffc, v2
	v_mul_f32_e32 v3, 0x2f800000, v2
	s_delay_alu instid0(VALU_DEP_1) | instskip(NEXT) | instid1(VALU_DEP_1)
	v_trunc_f32_e32 v3, v3
	v_fmamk_f32 v2, v3, 0xcf800000, v2
	v_cvt_u32_f32_e32 v3, v3
	s_delay_alu instid0(VALU_DEP_2) | instskip(NEXT) | instid1(VALU_DEP_2)
	v_cvt_u32_f32_e32 v2, v2
	v_mul_lo_u32 v8, s2, v3
	s_delay_alu instid0(VALU_DEP_2) | instskip(SKIP_1) | instid1(VALU_DEP_2)
	v_mul_hi_u32 v9, s2, v2
	v_mul_lo_u32 v11, s5, v2
	v_add_nc_u32_e32 v8, v9, v8
	v_mul_lo_u32 v9, s2, v2
	s_delay_alu instid0(VALU_DEP_2) | instskip(NEXT) | instid1(VALU_DEP_2)
	v_add_nc_u32_e32 v8, v8, v11
	v_mul_hi_u32 v11, v2, v9
	s_delay_alu instid0(VALU_DEP_2)
	v_mul_lo_u32 v12, v2, v8
	v_mul_hi_u32 v13, v2, v8
	v_mul_hi_u32 v14, v3, v9
	v_mul_lo_u32 v9, v3, v9
	v_mul_hi_u32 v15, v3, v8
	v_mul_lo_u32 v8, v3, v8
	v_add_co_u32 v11, vcc_lo, v11, v12
	v_add_co_ci_u32_e32 v12, vcc_lo, 0, v13, vcc_lo
	s_delay_alu instid0(VALU_DEP_2) | instskip(NEXT) | instid1(VALU_DEP_2)
	v_add_co_u32 v9, vcc_lo, v11, v9
	v_add_co_ci_u32_e32 v9, vcc_lo, v12, v14, vcc_lo
	v_add_co_ci_u32_e32 v11, vcc_lo, 0, v15, vcc_lo
	v_ashrrev_i32_e32 v14, 31, v7
	s_delay_alu instid0(VALU_DEP_3) | instskip(NEXT) | instid1(VALU_DEP_3)
	v_add_co_u32 v8, vcc_lo, v9, v8
	v_add_co_ci_u32_e32 v9, vcc_lo, 0, v11, vcc_lo
	s_delay_alu instid0(VALU_DEP_2) | instskip(NEXT) | instid1(VALU_DEP_2)
	v_add_co_u32 v2, vcc_lo, v2, v8
	v_add_co_ci_u32_e32 v3, vcc_lo, v3, v9, vcc_lo
	s_delay_alu instid0(VALU_DEP_2) | instskip(SKIP_1) | instid1(VALU_DEP_3)
	v_mul_hi_u32 v8, s2, v2
	v_mul_lo_u32 v11, s5, v2
	v_mul_lo_u32 v9, s2, v3
	s_delay_alu instid0(VALU_DEP_1) | instskip(SKIP_1) | instid1(VALU_DEP_2)
	v_add_nc_u32_e32 v8, v8, v9
	v_mul_lo_u32 v9, s2, v2
	v_add_nc_u32_e32 v8, v8, v11
	s_delay_alu instid0(VALU_DEP_2) | instskip(NEXT) | instid1(VALU_DEP_2)
	v_mul_hi_u32 v11, v2, v9
	v_mul_lo_u32 v12, v2, v8
	v_mul_hi_u32 v13, v2, v8
	v_mul_hi_u32 v15, v3, v9
	v_mul_lo_u32 v9, v3, v9
	v_mul_hi_u32 v16, v3, v8
	v_mul_lo_u32 v8, v3, v8
	v_add_co_u32 v11, vcc_lo, v11, v12
	v_add_co_ci_u32_e32 v12, vcc_lo, 0, v13, vcc_lo
	s_delay_alu instid0(VALU_DEP_2) | instskip(NEXT) | instid1(VALU_DEP_2)
	v_add_co_u32 v9, vcc_lo, v11, v9
	v_add_co_ci_u32_e32 v9, vcc_lo, v12, v15, vcc_lo
	v_add_co_ci_u32_e32 v11, vcc_lo, 0, v16, vcc_lo
	v_add_co_u32 v12, vcc_lo, v6, v14
	v_add_co_ci_u32_e32 v13, vcc_lo, v7, v14, vcc_lo
	s_delay_alu instid0(VALU_DEP_4) | instskip(NEXT) | instid1(VALU_DEP_4)
	v_add_co_u32 v8, vcc_lo, v9, v8
	v_add_co_ci_u32_e32 v9, vcc_lo, 0, v11, vcc_lo
	s_delay_alu instid0(VALU_DEP_4) | instskip(NEXT) | instid1(VALU_DEP_3)
	v_xor_b32_e32 v15, v12, v14
	v_add_co_u32 v11, vcc_lo, v2, v8
	s_delay_alu instid0(VALU_DEP_3) | instskip(SKIP_1) | instid1(VALU_DEP_3)
	v_add_co_ci_u32_e32 v16, vcc_lo, v3, v9, vcc_lo
	v_xor_b32_e32 v13, v13, v14
	v_mul_hi_u32 v17, v15, v11
	s_delay_alu instid0(VALU_DEP_3) | instskip(NEXT) | instid1(VALU_DEP_3)
	v_mad_u64_u32 v[2:3], null, v15, v16, 0
	v_mad_u64_u32 v[8:9], null, v13, v11, 0
	;; [unrolled: 1-line block ×3, first 2 shown]
	s_delay_alu instid0(VALU_DEP_3) | instskip(NEXT) | instid1(VALU_DEP_4)
	v_add_co_u32 v2, vcc_lo, v17, v2
	v_add_co_ci_u32_e32 v3, vcc_lo, 0, v3, vcc_lo
	s_delay_alu instid0(VALU_DEP_2) | instskip(NEXT) | instid1(VALU_DEP_2)
	v_add_co_u32 v2, vcc_lo, v2, v8
	v_add_co_ci_u32_e32 v2, vcc_lo, v3, v9, vcc_lo
	v_add_co_ci_u32_e32 v3, vcc_lo, 0, v12, vcc_lo
	s_delay_alu instid0(VALU_DEP_2) | instskip(NEXT) | instid1(VALU_DEP_2)
	v_add_co_u32 v8, vcc_lo, v2, v11
	v_add_co_ci_u32_e32 v9, vcc_lo, 0, v3, vcc_lo
	s_delay_alu instid0(VALU_DEP_2) | instskip(SKIP_1) | instid1(VALU_DEP_3)
	v_mul_lo_u32 v11, s7, v8
	v_mad_u64_u32 v[2:3], null, s6, v8, 0
	v_mul_lo_u32 v12, s6, v9
	s_delay_alu instid0(VALU_DEP_2) | instskip(NEXT) | instid1(VALU_DEP_2)
	v_sub_co_u32 v2, vcc_lo, v15, v2
	v_add3_u32 v3, v3, v12, v11
	s_delay_alu instid0(VALU_DEP_1) | instskip(NEXT) | instid1(VALU_DEP_1)
	v_sub_nc_u32_e32 v11, v13, v3
	v_subrev_co_ci_u32_e64 v11, s2, s7, v11, vcc_lo
	v_add_co_u32 v12, s2, v8, 2
	s_delay_alu instid0(VALU_DEP_1) | instskip(SKIP_3) | instid1(VALU_DEP_3)
	v_add_co_ci_u32_e64 v15, s2, 0, v9, s2
	v_sub_co_u32 v16, s2, v2, s6
	v_sub_co_ci_u32_e32 v3, vcc_lo, v13, v3, vcc_lo
	v_subrev_co_ci_u32_e64 v11, s2, 0, v11, s2
	v_cmp_le_u32_e32 vcc_lo, s6, v16
	s_delay_alu instid0(VALU_DEP_3) | instskip(SKIP_1) | instid1(VALU_DEP_4)
	v_cmp_eq_u32_e64 s2, s7, v3
	v_cndmask_b32_e64 v13, 0, -1, vcc_lo
	v_cmp_le_u32_e32 vcc_lo, s7, v11
	v_cndmask_b32_e64 v16, 0, -1, vcc_lo
	v_cmp_le_u32_e32 vcc_lo, s6, v2
	;; [unrolled: 2-line block ×3, first 2 shown]
	v_cndmask_b32_e64 v17, 0, -1, vcc_lo
	v_cmp_eq_u32_e32 vcc_lo, s7, v11
	s_delay_alu instid0(VALU_DEP_2) | instskip(SKIP_3) | instid1(VALU_DEP_3)
	v_cndmask_b32_e64 v2, v17, v2, s2
	v_cndmask_b32_e32 v11, v16, v13, vcc_lo
	v_add_co_u32 v13, vcc_lo, v8, 1
	v_add_co_ci_u32_e32 v16, vcc_lo, 0, v9, vcc_lo
	v_cmp_ne_u32_e32 vcc_lo, 0, v11
	s_delay_alu instid0(VALU_DEP_3) | instskip(NEXT) | instid1(VALU_DEP_3)
	v_cndmask_b32_e32 v11, v13, v12, vcc_lo
	v_cndmask_b32_e32 v3, v16, v15, vcc_lo
	v_cmp_ne_u32_e32 vcc_lo, 0, v2
	v_xor_b32_e32 v12, s4, v14
	s_delay_alu instid0(VALU_DEP_3) | instskip(SKIP_1) | instid1(VALU_DEP_2)
	v_cndmask_b32_e32 v2, v9, v3, vcc_lo
	v_cndmask_b32_e32 v3, v8, v11, vcc_lo
	v_xor_b32_e32 v8, v2, v12
	s_delay_alu instid0(VALU_DEP_2) | instskip(NEXT) | instid1(VALU_DEP_1)
	v_xor_b32_e32 v3, v3, v12
	v_sub_co_u32 v2, vcc_lo, v3, v12
	s_delay_alu instid0(VALU_DEP_3)
	v_sub_co_ci_u32_e32 v3, vcc_lo, v8, v12, vcc_lo
.LBB15_7:
	s_and_not1_saveexec_b32 s2, s9
	s_cbranch_execz .LBB15_9
; %bb.8:
	v_cvt_f32_u32_e32 v2, s3
	s_sub_i32 s4, 0, s3
	s_delay_alu instid0(VALU_DEP_1) | instskip(SKIP_2) | instid1(VALU_DEP_1)
	v_rcp_iflag_f32_e32 v2, v2
	s_waitcnt_depctr 0xfff
	v_mul_f32_e32 v2, 0x4f7ffffe, v2
	v_cvt_u32_f32_e32 v2, v2
	s_delay_alu instid0(VALU_DEP_1) | instskip(NEXT) | instid1(VALU_DEP_1)
	v_mul_lo_u32 v3, s4, v2
	v_mul_hi_u32 v3, v2, v3
	s_delay_alu instid0(VALU_DEP_1) | instskip(NEXT) | instid1(VALU_DEP_1)
	v_add_nc_u32_e32 v2, v2, v3
	v_mul_hi_u32 v2, v6, v2
	s_delay_alu instid0(VALU_DEP_1) | instskip(SKIP_1) | instid1(VALU_DEP_2)
	v_mul_lo_u32 v3, v2, s3
	v_add_nc_u32_e32 v8, 1, v2
	v_sub_nc_u32_e32 v3, v6, v3
	s_delay_alu instid0(VALU_DEP_1) | instskip(SKIP_1) | instid1(VALU_DEP_2)
	v_subrev_nc_u32_e32 v9, s3, v3
	v_cmp_le_u32_e32 vcc_lo, s3, v3
	v_dual_cndmask_b32 v3, v3, v9 :: v_dual_cndmask_b32 v2, v2, v8
	s_delay_alu instid0(VALU_DEP_1) | instskip(NEXT) | instid1(VALU_DEP_2)
	v_cmp_le_u32_e32 vcc_lo, s3, v3
	v_dual_mov_b32 v3, 0 :: v_dual_add_nc_u32 v8, 1, v2
	s_delay_alu instid0(VALU_DEP_1)
	v_cndmask_b32_e32 v2, v2, v8, vcc_lo
.LBB15_9:
	s_or_b32 exec_lo, exec_lo, s2
	s_delay_alu instid0(VALU_DEP_1) | instskip(NEXT) | instid1(VALU_DEP_2)
	v_mul_lo_u32 v11, s8, v2
	v_mul_lo_u32 v12, s3, v3
	v_mad_u64_u32 v[8:9], null, s3, v2, 0
	s_delay_alu instid0(VALU_DEP_1) | instskip(NEXT) | instid1(VALU_DEP_2)
	v_add3_u32 v9, v9, v12, v11
	v_sub_co_u32 v12, vcc_lo, v6, v8
	v_mov_b32_e32 v6, 0
	s_delay_alu instid0(VALU_DEP_3) | instskip(NEXT) | instid1(VALU_DEP_1)
	v_sub_co_ci_u32_e32 v13, vcc_lo, v7, v9, vcc_lo
	v_or_b32_e32 v7, s23, v13
	s_delay_alu instid0(VALU_DEP_1) | instskip(SKIP_1) | instid1(SALU_CYCLE_1)
	v_cmp_ne_u64_e32 vcc_lo, 0, v[6:7]
                                        ; implicit-def: $vgpr6_vgpr7
	s_and_saveexec_b32 s2, vcc_lo
	s_xor_b32 s3, exec_lo, s2
	s_cbranch_execz .LBB15_11
; %bb.10:
	s_ashr_i32 s4, s23, 31
	s_delay_alu instid0(SALU_CYCLE_1) | instskip(SKIP_2) | instid1(SALU_CYCLE_1)
	s_add_u32 s6, s22, s4
	s_mov_b32 s5, s4
	s_addc_u32 s7, s23, s4
	s_xor_b64 s[6:7], s[6:7], s[4:5]
	s_delay_alu instid0(SALU_CYCLE_1) | instskip(SKIP_3) | instid1(VALU_DEP_1)
	v_cvt_f32_u32_e32 v6, s6
	v_cvt_f32_u32_e32 v7, s7
	s_sub_u32 s2, 0, s6
	s_subb_u32 s5, 0, s7
	v_fmamk_f32 v6, v7, 0x4f800000, v6
	s_delay_alu instid0(VALU_DEP_1) | instskip(SKIP_2) | instid1(VALU_DEP_1)
	v_rcp_f32_e32 v6, v6
	s_waitcnt_depctr 0xfff
	v_mul_f32_e32 v6, 0x5f7ffffc, v6
	v_mul_f32_e32 v7, 0x2f800000, v6
	s_delay_alu instid0(VALU_DEP_1) | instskip(NEXT) | instid1(VALU_DEP_1)
	v_trunc_f32_e32 v7, v7
	v_fmamk_f32 v6, v7, 0xcf800000, v6
	v_cvt_u32_f32_e32 v7, v7
	s_delay_alu instid0(VALU_DEP_2) | instskip(NEXT) | instid1(VALU_DEP_2)
	v_cvt_u32_f32_e32 v6, v6
	v_mul_lo_u32 v8, s2, v7
	s_delay_alu instid0(VALU_DEP_2) | instskip(SKIP_1) | instid1(VALU_DEP_2)
	v_mul_hi_u32 v9, s2, v6
	v_mul_lo_u32 v11, s5, v6
	v_add_nc_u32_e32 v8, v9, v8
	v_mul_lo_u32 v9, s2, v6
	s_delay_alu instid0(VALU_DEP_2) | instskip(NEXT) | instid1(VALU_DEP_2)
	v_add_nc_u32_e32 v8, v8, v11
	v_mul_hi_u32 v11, v6, v9
	s_delay_alu instid0(VALU_DEP_2)
	v_mul_lo_u32 v14, v6, v8
	v_mul_hi_u32 v15, v6, v8
	v_mul_hi_u32 v16, v7, v9
	v_mul_lo_u32 v9, v7, v9
	v_mul_hi_u32 v17, v7, v8
	v_mul_lo_u32 v8, v7, v8
	v_add_co_u32 v11, vcc_lo, v11, v14
	v_add_co_ci_u32_e32 v14, vcc_lo, 0, v15, vcc_lo
	s_delay_alu instid0(VALU_DEP_2) | instskip(NEXT) | instid1(VALU_DEP_2)
	v_add_co_u32 v9, vcc_lo, v11, v9
	v_add_co_ci_u32_e32 v9, vcc_lo, v14, v16, vcc_lo
	v_add_co_ci_u32_e32 v11, vcc_lo, 0, v17, vcc_lo
	v_ashrrev_i32_e32 v16, 31, v13
	s_delay_alu instid0(VALU_DEP_3) | instskip(NEXT) | instid1(VALU_DEP_3)
	v_add_co_u32 v8, vcc_lo, v9, v8
	v_add_co_ci_u32_e32 v9, vcc_lo, 0, v11, vcc_lo
	s_delay_alu instid0(VALU_DEP_2) | instskip(NEXT) | instid1(VALU_DEP_2)
	v_add_co_u32 v6, vcc_lo, v6, v8
	v_add_co_ci_u32_e32 v7, vcc_lo, v7, v9, vcc_lo
	s_delay_alu instid0(VALU_DEP_2) | instskip(SKIP_1) | instid1(VALU_DEP_3)
	v_mul_hi_u32 v8, s2, v6
	v_mul_lo_u32 v11, s5, v6
	v_mul_lo_u32 v9, s2, v7
	s_delay_alu instid0(VALU_DEP_1) | instskip(SKIP_1) | instid1(VALU_DEP_2)
	v_add_nc_u32_e32 v8, v8, v9
	v_mul_lo_u32 v9, s2, v6
	v_add_nc_u32_e32 v8, v8, v11
	s_delay_alu instid0(VALU_DEP_2) | instskip(NEXT) | instid1(VALU_DEP_2)
	v_mul_hi_u32 v11, v6, v9
	v_mul_lo_u32 v14, v6, v8
	v_mul_hi_u32 v15, v6, v8
	v_mul_hi_u32 v17, v7, v9
	v_mul_lo_u32 v9, v7, v9
	v_mul_hi_u32 v18, v7, v8
	v_mul_lo_u32 v8, v7, v8
	v_add_co_u32 v11, vcc_lo, v11, v14
	v_add_co_ci_u32_e32 v14, vcc_lo, 0, v15, vcc_lo
	s_delay_alu instid0(VALU_DEP_2) | instskip(NEXT) | instid1(VALU_DEP_2)
	v_add_co_u32 v9, vcc_lo, v11, v9
	v_add_co_ci_u32_e32 v9, vcc_lo, v14, v17, vcc_lo
	v_add_co_ci_u32_e32 v11, vcc_lo, 0, v18, vcc_lo
	v_add_co_u32 v14, vcc_lo, v12, v16
	v_add_co_ci_u32_e32 v15, vcc_lo, v13, v16, vcc_lo
	s_delay_alu instid0(VALU_DEP_4) | instskip(NEXT) | instid1(VALU_DEP_4)
	v_add_co_u32 v8, vcc_lo, v9, v8
	v_add_co_ci_u32_e32 v9, vcc_lo, 0, v11, vcc_lo
	s_delay_alu instid0(VALU_DEP_4) | instskip(NEXT) | instid1(VALU_DEP_3)
	v_xor_b32_e32 v11, v14, v16
	v_add_co_u32 v14, vcc_lo, v6, v8
	s_delay_alu instid0(VALU_DEP_3) | instskip(SKIP_1) | instid1(VALU_DEP_3)
	v_add_co_ci_u32_e32 v17, vcc_lo, v7, v9, vcc_lo
	v_xor_b32_e32 v18, v15, v16
	v_mul_hi_u32 v19, v11, v14
	s_delay_alu instid0(VALU_DEP_3) | instskip(NEXT) | instid1(VALU_DEP_3)
	v_mad_u64_u32 v[6:7], null, v11, v17, 0
	v_mad_u64_u32 v[8:9], null, v18, v14, 0
	;; [unrolled: 1-line block ×3, first 2 shown]
	s_delay_alu instid0(VALU_DEP_3) | instskip(NEXT) | instid1(VALU_DEP_4)
	v_add_co_u32 v6, vcc_lo, v19, v6
	v_add_co_ci_u32_e32 v7, vcc_lo, 0, v7, vcc_lo
	s_delay_alu instid0(VALU_DEP_2) | instskip(NEXT) | instid1(VALU_DEP_2)
	v_add_co_u32 v6, vcc_lo, v6, v8
	v_add_co_ci_u32_e32 v6, vcc_lo, v7, v9, vcc_lo
	v_add_co_ci_u32_e32 v7, vcc_lo, 0, v15, vcc_lo
	s_delay_alu instid0(VALU_DEP_2) | instskip(NEXT) | instid1(VALU_DEP_2)
	v_add_co_u32 v8, vcc_lo, v6, v14
	v_add_co_ci_u32_e32 v9, vcc_lo, 0, v7, vcc_lo
	s_delay_alu instid0(VALU_DEP_2) | instskip(SKIP_1) | instid1(VALU_DEP_3)
	v_mul_lo_u32 v14, s7, v8
	v_mad_u64_u32 v[6:7], null, s6, v8, 0
	v_mul_lo_u32 v15, s6, v9
	s_delay_alu instid0(VALU_DEP_2) | instskip(NEXT) | instid1(VALU_DEP_2)
	v_sub_co_u32 v6, vcc_lo, v11, v6
	v_add3_u32 v7, v7, v15, v14
	s_delay_alu instid0(VALU_DEP_1) | instskip(NEXT) | instid1(VALU_DEP_1)
	v_sub_nc_u32_e32 v14, v18, v7
	v_subrev_co_ci_u32_e64 v11, s2, s7, v14, vcc_lo
	v_add_co_u32 v14, s2, v8, 2
	s_delay_alu instid0(VALU_DEP_1) | instskip(SKIP_3) | instid1(VALU_DEP_3)
	v_add_co_ci_u32_e64 v15, s2, 0, v9, s2
	v_sub_co_u32 v17, s2, v6, s6
	v_sub_co_ci_u32_e32 v7, vcc_lo, v18, v7, vcc_lo
	v_subrev_co_ci_u32_e64 v11, s2, 0, v11, s2
	v_cmp_le_u32_e32 vcc_lo, s6, v17
	s_delay_alu instid0(VALU_DEP_3) | instskip(SKIP_1) | instid1(VALU_DEP_4)
	v_cmp_eq_u32_e64 s2, s7, v7
	v_cndmask_b32_e64 v17, 0, -1, vcc_lo
	v_cmp_le_u32_e32 vcc_lo, s7, v11
	v_cndmask_b32_e64 v18, 0, -1, vcc_lo
	v_cmp_le_u32_e32 vcc_lo, s6, v6
	;; [unrolled: 2-line block ×3, first 2 shown]
	v_cndmask_b32_e64 v19, 0, -1, vcc_lo
	v_cmp_eq_u32_e32 vcc_lo, s7, v11
	s_delay_alu instid0(VALU_DEP_2) | instskip(SKIP_3) | instid1(VALU_DEP_3)
	v_cndmask_b32_e64 v6, v19, v6, s2
	v_cndmask_b32_e32 v11, v18, v17, vcc_lo
	v_add_co_u32 v17, vcc_lo, v8, 1
	v_add_co_ci_u32_e32 v18, vcc_lo, 0, v9, vcc_lo
	v_cmp_ne_u32_e32 vcc_lo, 0, v11
	s_delay_alu instid0(VALU_DEP_3) | instskip(NEXT) | instid1(VALU_DEP_3)
	v_cndmask_b32_e32 v11, v17, v14, vcc_lo
	v_cndmask_b32_e32 v7, v18, v15, vcc_lo
	v_cmp_ne_u32_e32 vcc_lo, 0, v6
	v_xor_b32_e32 v14, s4, v16
	s_delay_alu instid0(VALU_DEP_3) | instskip(SKIP_1) | instid1(VALU_DEP_2)
	v_cndmask_b32_e32 v6, v9, v7, vcc_lo
	v_cndmask_b32_e32 v7, v8, v11, vcc_lo
	v_xor_b32_e32 v8, v6, v14
	s_delay_alu instid0(VALU_DEP_2) | instskip(NEXT) | instid1(VALU_DEP_1)
	v_xor_b32_e32 v7, v7, v14
	v_sub_co_u32 v6, vcc_lo, v7, v14
	s_delay_alu instid0(VALU_DEP_3)
	v_sub_co_ci_u32_e32 v7, vcc_lo, v8, v14, vcc_lo
.LBB15_11:
	s_and_not1_saveexec_b32 s2, s3
	s_cbranch_execz .LBB15_13
; %bb.12:
	v_cvt_f32_u32_e32 v6, s22
	s_sub_i32 s3, 0, s22
	s_delay_alu instid0(VALU_DEP_1) | instskip(SKIP_2) | instid1(VALU_DEP_1)
	v_rcp_iflag_f32_e32 v6, v6
	s_waitcnt_depctr 0xfff
	v_mul_f32_e32 v6, 0x4f7ffffe, v6
	v_cvt_u32_f32_e32 v6, v6
	s_delay_alu instid0(VALU_DEP_1) | instskip(NEXT) | instid1(VALU_DEP_1)
	v_mul_lo_u32 v7, s3, v6
	v_mul_hi_u32 v7, v6, v7
	s_delay_alu instid0(VALU_DEP_1) | instskip(NEXT) | instid1(VALU_DEP_1)
	v_add_nc_u32_e32 v6, v6, v7
	v_mul_hi_u32 v6, v12, v6
	s_delay_alu instid0(VALU_DEP_1) | instskip(SKIP_1) | instid1(VALU_DEP_2)
	v_mul_lo_u32 v7, v6, s22
	v_add_nc_u32_e32 v8, 1, v6
	v_sub_nc_u32_e32 v7, v12, v7
	s_delay_alu instid0(VALU_DEP_1) | instskip(SKIP_1) | instid1(VALU_DEP_2)
	v_subrev_nc_u32_e32 v9, s22, v7
	v_cmp_le_u32_e32 vcc_lo, s22, v7
	v_dual_cndmask_b32 v7, v7, v9 :: v_dual_cndmask_b32 v6, v6, v8
	s_delay_alu instid0(VALU_DEP_1) | instskip(NEXT) | instid1(VALU_DEP_2)
	v_cmp_le_u32_e32 vcc_lo, s22, v7
	v_dual_mov_b32 v7, 0 :: v_dual_add_nc_u32 v8, 1, v6
	s_delay_alu instid0(VALU_DEP_1)
	v_cndmask_b32_e32 v6, v6, v8, vcc_lo
.LBB15_13:
	s_or_b32 exec_lo, exec_lo, s2
	s_load_b512 s[36:51], s[0:1], 0x40
	v_mov_b32_e32 v8, 0
	s_waitcnt lgkmcnt(0)
	s_mul_i32 s2, s42, s41
	s_mul_hi_u32 s4, s42, s40
	s_mul_i32 s5, s43, s40
	s_mul_i32 s3, s42, s40
	s_add_i32 s8, s4, s2
	s_mul_i32 s2, s3, s45
	s_mul_hi_u32 s4, s3, s44
	s_add_i32 s8, s8, s5
	s_add_i32 s2, s4, s2
	s_mul_i32 s4, s8, s44
	s_mul_i32 s10, s3, s44
	s_add_i32 s9, s2, s4
	s_delay_alu instid0(SALU_CYCLE_1) | instskip(NEXT) | instid1(VALU_DEP_1)
	v_or_b32_e32 v9, s9, v5
	v_cmp_ne_u64_e32 vcc_lo, 0, v[8:9]
                                        ; implicit-def: $vgpr8_vgpr9
	s_and_saveexec_b32 s2, vcc_lo
	s_delay_alu instid0(SALU_CYCLE_1)
	s_xor_b32 s11, exec_lo, s2
	s_cbranch_execz .LBB15_15
; %bb.14:
	s_ashr_i32 s4, s9, 31
	s_delay_alu instid0(SALU_CYCLE_1) | instskip(SKIP_2) | instid1(SALU_CYCLE_1)
	s_add_u32 s6, s10, s4
	s_mov_b32 s5, s4
	s_addc_u32 s7, s9, s4
	s_xor_b64 s[6:7], s[6:7], s[4:5]
	s_delay_alu instid0(SALU_CYCLE_1) | instskip(SKIP_3) | instid1(VALU_DEP_1)
	v_cvt_f32_u32_e32 v8, s6
	v_cvt_f32_u32_e32 v9, s7
	s_sub_u32 s2, 0, s6
	s_subb_u32 s5, 0, s7
	v_fmamk_f32 v8, v9, 0x4f800000, v8
	s_delay_alu instid0(VALU_DEP_1) | instskip(SKIP_2) | instid1(VALU_DEP_1)
	v_rcp_f32_e32 v8, v8
	s_waitcnt_depctr 0xfff
	v_mul_f32_e32 v8, 0x5f7ffffc, v8
	v_mul_f32_e32 v9, 0x2f800000, v8
	s_delay_alu instid0(VALU_DEP_1) | instskip(NEXT) | instid1(VALU_DEP_1)
	v_trunc_f32_e32 v9, v9
	v_fmamk_f32 v8, v9, 0xcf800000, v8
	v_cvt_u32_f32_e32 v9, v9
	s_delay_alu instid0(VALU_DEP_2) | instskip(NEXT) | instid1(VALU_DEP_2)
	v_cvt_u32_f32_e32 v8, v8
	v_mul_lo_u32 v11, s2, v9
	s_delay_alu instid0(VALU_DEP_2) | instskip(SKIP_1) | instid1(VALU_DEP_2)
	v_mul_hi_u32 v14, s2, v8
	v_mul_lo_u32 v15, s5, v8
	v_add_nc_u32_e32 v11, v14, v11
	v_mul_lo_u32 v14, s2, v8
	s_delay_alu instid0(VALU_DEP_2) | instskip(NEXT) | instid1(VALU_DEP_2)
	v_add_nc_u32_e32 v11, v11, v15
	v_mul_hi_u32 v15, v8, v14
	s_delay_alu instid0(VALU_DEP_2)
	v_mul_lo_u32 v16, v8, v11
	v_mul_hi_u32 v17, v8, v11
	v_mul_hi_u32 v18, v9, v14
	v_mul_lo_u32 v14, v9, v14
	v_mul_hi_u32 v19, v9, v11
	v_mul_lo_u32 v11, v9, v11
	v_add_co_u32 v15, vcc_lo, v15, v16
	v_add_co_ci_u32_e32 v16, vcc_lo, 0, v17, vcc_lo
	s_delay_alu instid0(VALU_DEP_2) | instskip(NEXT) | instid1(VALU_DEP_2)
	v_add_co_u32 v14, vcc_lo, v15, v14
	v_add_co_ci_u32_e32 v14, vcc_lo, v16, v18, vcc_lo
	v_add_co_ci_u32_e32 v15, vcc_lo, 0, v19, vcc_lo
	s_delay_alu instid0(VALU_DEP_2) | instskip(NEXT) | instid1(VALU_DEP_2)
	v_add_co_u32 v11, vcc_lo, v14, v11
	v_add_co_ci_u32_e32 v14, vcc_lo, 0, v15, vcc_lo
	s_delay_alu instid0(VALU_DEP_2) | instskip(NEXT) | instid1(VALU_DEP_2)
	v_add_co_u32 v8, vcc_lo, v8, v11
	v_add_co_ci_u32_e32 v9, vcc_lo, v9, v14, vcc_lo
	s_delay_alu instid0(VALU_DEP_2) | instskip(SKIP_1) | instid1(VALU_DEP_3)
	v_mul_hi_u32 v11, s2, v8
	v_mul_lo_u32 v15, s5, v8
	v_mul_lo_u32 v14, s2, v9
	s_delay_alu instid0(VALU_DEP_1) | instskip(SKIP_1) | instid1(VALU_DEP_2)
	v_add_nc_u32_e32 v11, v11, v14
	v_mul_lo_u32 v14, s2, v8
	v_add_nc_u32_e32 v11, v11, v15
	s_delay_alu instid0(VALU_DEP_2) | instskip(NEXT) | instid1(VALU_DEP_2)
	v_mul_hi_u32 v15, v8, v14
	v_mul_lo_u32 v16, v8, v11
	v_mul_hi_u32 v17, v8, v11
	v_mul_hi_u32 v18, v9, v14
	v_mul_lo_u32 v14, v9, v14
	v_mul_hi_u32 v19, v9, v11
	v_mul_lo_u32 v11, v9, v11
	v_add_co_u32 v15, vcc_lo, v15, v16
	v_add_co_ci_u32_e32 v16, vcc_lo, 0, v17, vcc_lo
	s_delay_alu instid0(VALU_DEP_2) | instskip(NEXT) | instid1(VALU_DEP_2)
	v_add_co_u32 v14, vcc_lo, v15, v14
	v_add_co_ci_u32_e32 v14, vcc_lo, v16, v18, vcc_lo
	v_add_co_ci_u32_e32 v15, vcc_lo, 0, v19, vcc_lo
	v_add_co_u32 v16, vcc_lo, v4, v10
	v_add_co_ci_u32_e32 v17, vcc_lo, v5, v10, vcc_lo
	s_delay_alu instid0(VALU_DEP_4) | instskip(NEXT) | instid1(VALU_DEP_4)
	v_add_co_u32 v11, vcc_lo, v14, v11
	v_add_co_ci_u32_e32 v14, vcc_lo, 0, v15, vcc_lo
	s_delay_alu instid0(VALU_DEP_4) | instskip(NEXT) | instid1(VALU_DEP_3)
	v_xor_b32_e32 v18, v16, v10
	v_add_co_u32 v11, vcc_lo, v8, v11
	s_delay_alu instid0(VALU_DEP_3) | instskip(SKIP_1) | instid1(VALU_DEP_3)
	v_add_co_ci_u32_e32 v19, vcc_lo, v9, v14, vcc_lo
	v_xor_b32_e32 v20, v17, v10
	v_mul_hi_u32 v21, v18, v11
	v_xor_b32_e32 v10, s4, v10
	s_delay_alu instid0(VALU_DEP_4) | instskip(NEXT) | instid1(VALU_DEP_4)
	v_mad_u64_u32 v[8:9], null, v18, v19, 0
	v_mad_u64_u32 v[14:15], null, v20, v11, 0
	v_mad_u64_u32 v[16:17], null, v20, v19, 0
	s_delay_alu instid0(VALU_DEP_3) | instskip(NEXT) | instid1(VALU_DEP_4)
	v_add_co_u32 v8, vcc_lo, v21, v8
	v_add_co_ci_u32_e32 v9, vcc_lo, 0, v9, vcc_lo
	s_delay_alu instid0(VALU_DEP_2) | instskip(NEXT) | instid1(VALU_DEP_2)
	v_add_co_u32 v8, vcc_lo, v8, v14
	v_add_co_ci_u32_e32 v8, vcc_lo, v9, v15, vcc_lo
	v_add_co_ci_u32_e32 v9, vcc_lo, 0, v17, vcc_lo
	s_delay_alu instid0(VALU_DEP_2) | instskip(NEXT) | instid1(VALU_DEP_2)
	v_add_co_u32 v11, vcc_lo, v8, v16
	v_add_co_ci_u32_e32 v14, vcc_lo, 0, v9, vcc_lo
	s_delay_alu instid0(VALU_DEP_2) | instskip(SKIP_1) | instid1(VALU_DEP_3)
	v_mul_lo_u32 v15, s7, v11
	v_mad_u64_u32 v[8:9], null, s6, v11, 0
	v_mul_lo_u32 v16, s6, v14
	s_delay_alu instid0(VALU_DEP_2) | instskip(NEXT) | instid1(VALU_DEP_2)
	v_sub_co_u32 v8, vcc_lo, v18, v8
	v_add3_u32 v9, v9, v16, v15
	s_delay_alu instid0(VALU_DEP_1) | instskip(NEXT) | instid1(VALU_DEP_1)
	v_sub_nc_u32_e32 v15, v20, v9
	v_subrev_co_ci_u32_e64 v15, s2, s7, v15, vcc_lo
	v_add_co_u32 v16, s2, v11, 2
	s_delay_alu instid0(VALU_DEP_1) | instskip(SKIP_3) | instid1(VALU_DEP_3)
	v_add_co_ci_u32_e64 v17, s2, 0, v14, s2
	v_sub_co_u32 v18, s2, v8, s6
	v_sub_co_ci_u32_e32 v9, vcc_lo, v20, v9, vcc_lo
	v_subrev_co_ci_u32_e64 v15, s2, 0, v15, s2
	v_cmp_le_u32_e32 vcc_lo, s6, v18
	s_delay_alu instid0(VALU_DEP_3) | instskip(SKIP_1) | instid1(VALU_DEP_4)
	v_cmp_eq_u32_e64 s2, s7, v9
	v_cndmask_b32_e64 v18, 0, -1, vcc_lo
	v_cmp_le_u32_e32 vcc_lo, s7, v15
	v_cndmask_b32_e64 v19, 0, -1, vcc_lo
	v_cmp_le_u32_e32 vcc_lo, s6, v8
	;; [unrolled: 2-line block ×3, first 2 shown]
	v_cndmask_b32_e64 v20, 0, -1, vcc_lo
	v_cmp_eq_u32_e32 vcc_lo, s7, v15
	s_delay_alu instid0(VALU_DEP_2) | instskip(SKIP_3) | instid1(VALU_DEP_3)
	v_cndmask_b32_e64 v8, v20, v8, s2
	v_cndmask_b32_e32 v15, v19, v18, vcc_lo
	v_add_co_u32 v18, vcc_lo, v11, 1
	v_add_co_ci_u32_e32 v19, vcc_lo, 0, v14, vcc_lo
	v_cmp_ne_u32_e32 vcc_lo, 0, v15
	s_delay_alu instid0(VALU_DEP_2) | instskip(NEXT) | instid1(VALU_DEP_4)
	v_cndmask_b32_e32 v9, v19, v17, vcc_lo
	v_cndmask_b32_e32 v15, v18, v16, vcc_lo
	v_cmp_ne_u32_e32 vcc_lo, 0, v8
	s_delay_alu instid0(VALU_DEP_2) | instskip(NEXT) | instid1(VALU_DEP_1)
	v_dual_cndmask_b32 v8, v14, v9 :: v_dual_cndmask_b32 v9, v11, v15
	v_xor_b32_e32 v11, v8, v10
	s_delay_alu instid0(VALU_DEP_2) | instskip(NEXT) | instid1(VALU_DEP_1)
	v_xor_b32_e32 v9, v9, v10
	v_sub_co_u32 v8, vcc_lo, v9, v10
	s_delay_alu instid0(VALU_DEP_3)
	v_sub_co_ci_u32_e32 v9, vcc_lo, v11, v10, vcc_lo
.LBB15_15:
	s_and_not1_saveexec_b32 s2, s11
	s_cbranch_execz .LBB15_17
; %bb.16:
	v_cvt_f32_u32_e32 v8, s10
	s_sub_i32 s4, 0, s10
	s_delay_alu instid0(VALU_DEP_1) | instskip(SKIP_2) | instid1(VALU_DEP_1)
	v_rcp_iflag_f32_e32 v8, v8
	s_waitcnt_depctr 0xfff
	v_mul_f32_e32 v8, 0x4f7ffffe, v8
	v_cvt_u32_f32_e32 v8, v8
	s_delay_alu instid0(VALU_DEP_1) | instskip(NEXT) | instid1(VALU_DEP_1)
	v_mul_lo_u32 v9, s4, v8
	v_mul_hi_u32 v9, v8, v9
	s_delay_alu instid0(VALU_DEP_1) | instskip(NEXT) | instid1(VALU_DEP_1)
	v_add_nc_u32_e32 v8, v8, v9
	v_mul_hi_u32 v8, v4, v8
	s_delay_alu instid0(VALU_DEP_1) | instskip(SKIP_1) | instid1(VALU_DEP_2)
	v_mul_lo_u32 v9, v8, s10
	v_add_nc_u32_e32 v10, 1, v8
	v_sub_nc_u32_e32 v9, v4, v9
	s_delay_alu instid0(VALU_DEP_1) | instskip(SKIP_1) | instid1(VALU_DEP_2)
	v_subrev_nc_u32_e32 v11, s10, v9
	v_cmp_le_u32_e32 vcc_lo, s10, v9
	v_dual_cndmask_b32 v9, v9, v11 :: v_dual_cndmask_b32 v8, v8, v10
	s_delay_alu instid0(VALU_DEP_1) | instskip(NEXT) | instid1(VALU_DEP_2)
	v_cmp_le_u32_e32 vcc_lo, s10, v9
	v_dual_mov_b32 v9, 0 :: v_dual_add_nc_u32 v10, 1, v8
	s_delay_alu instid0(VALU_DEP_1)
	v_cndmask_b32_e32 v8, v8, v10, vcc_lo
.LBB15_17:
	s_or_b32 exec_lo, exec_lo, s2
	s_delay_alu instid0(VALU_DEP_1) | instskip(NEXT) | instid1(VALU_DEP_2)
	v_mul_lo_u32 v14, s9, v8
	v_mul_lo_u32 v15, s10, v9
	v_mad_u64_u32 v[10:11], null, s10, v8, 0
	s_delay_alu instid0(VALU_DEP_1) | instskip(NEXT) | instid1(VALU_DEP_2)
	v_add3_u32 v11, v11, v15, v14
	v_sub_co_u32 v10, vcc_lo, v4, v10
	v_mov_b32_e32 v4, 0
	s_delay_alu instid0(VALU_DEP_3) | instskip(NEXT) | instid1(VALU_DEP_1)
	v_sub_co_ci_u32_e32 v11, vcc_lo, v5, v11, vcc_lo
	v_or_b32_e32 v5, s8, v11
	s_delay_alu instid0(VALU_DEP_1) | instskip(SKIP_1) | instid1(SALU_CYCLE_1)
	v_cmp_ne_u64_e32 vcc_lo, 0, v[4:5]
                                        ; implicit-def: $vgpr4_vgpr5
	s_and_saveexec_b32 s2, vcc_lo
	s_xor_b32 s9, exec_lo, s2
	s_cbranch_execz .LBB15_19
; %bb.18:
	s_ashr_i32 s4, s8, 31
	s_delay_alu instid0(SALU_CYCLE_1) | instskip(SKIP_2) | instid1(SALU_CYCLE_1)
	s_add_u32 s6, s3, s4
	s_mov_b32 s5, s4
	s_addc_u32 s7, s8, s4
	s_xor_b64 s[6:7], s[6:7], s[4:5]
	s_delay_alu instid0(SALU_CYCLE_1) | instskip(SKIP_3) | instid1(VALU_DEP_1)
	v_cvt_f32_u32_e32 v4, s6
	v_cvt_f32_u32_e32 v5, s7
	s_sub_u32 s2, 0, s6
	s_subb_u32 s5, 0, s7
	v_fmamk_f32 v4, v5, 0x4f800000, v4
	s_delay_alu instid0(VALU_DEP_1) | instskip(SKIP_2) | instid1(VALU_DEP_1)
	v_rcp_f32_e32 v4, v4
	s_waitcnt_depctr 0xfff
	v_mul_f32_e32 v4, 0x5f7ffffc, v4
	v_mul_f32_e32 v5, 0x2f800000, v4
	s_delay_alu instid0(VALU_DEP_1) | instskip(NEXT) | instid1(VALU_DEP_1)
	v_trunc_f32_e32 v5, v5
	v_fmamk_f32 v4, v5, 0xcf800000, v4
	v_cvt_u32_f32_e32 v5, v5
	s_delay_alu instid0(VALU_DEP_2) | instskip(NEXT) | instid1(VALU_DEP_2)
	v_cvt_u32_f32_e32 v4, v4
	v_mul_lo_u32 v14, s2, v5
	s_delay_alu instid0(VALU_DEP_2) | instskip(SKIP_1) | instid1(VALU_DEP_2)
	v_mul_hi_u32 v15, s2, v4
	v_mul_lo_u32 v16, s5, v4
	v_add_nc_u32_e32 v14, v15, v14
	v_mul_lo_u32 v15, s2, v4
	s_delay_alu instid0(VALU_DEP_2) | instskip(NEXT) | instid1(VALU_DEP_2)
	v_add_nc_u32_e32 v14, v14, v16
	v_mul_hi_u32 v16, v4, v15
	s_delay_alu instid0(VALU_DEP_2)
	v_mul_lo_u32 v17, v4, v14
	v_mul_hi_u32 v18, v4, v14
	v_mul_hi_u32 v19, v5, v15
	v_mul_lo_u32 v15, v5, v15
	v_mul_hi_u32 v20, v5, v14
	v_mul_lo_u32 v14, v5, v14
	v_add_co_u32 v16, vcc_lo, v16, v17
	v_add_co_ci_u32_e32 v17, vcc_lo, 0, v18, vcc_lo
	s_delay_alu instid0(VALU_DEP_2) | instskip(NEXT) | instid1(VALU_DEP_2)
	v_add_co_u32 v15, vcc_lo, v16, v15
	v_add_co_ci_u32_e32 v15, vcc_lo, v17, v19, vcc_lo
	v_add_co_ci_u32_e32 v16, vcc_lo, 0, v20, vcc_lo
	v_ashrrev_i32_e32 v19, 31, v11
	s_delay_alu instid0(VALU_DEP_3) | instskip(NEXT) | instid1(VALU_DEP_3)
	v_add_co_u32 v14, vcc_lo, v15, v14
	v_add_co_ci_u32_e32 v15, vcc_lo, 0, v16, vcc_lo
	s_delay_alu instid0(VALU_DEP_2) | instskip(NEXT) | instid1(VALU_DEP_2)
	v_add_co_u32 v4, vcc_lo, v4, v14
	v_add_co_ci_u32_e32 v5, vcc_lo, v5, v15, vcc_lo
	s_delay_alu instid0(VALU_DEP_2) | instskip(SKIP_1) | instid1(VALU_DEP_3)
	v_mul_hi_u32 v14, s2, v4
	v_mul_lo_u32 v16, s5, v4
	v_mul_lo_u32 v15, s2, v5
	s_delay_alu instid0(VALU_DEP_1) | instskip(SKIP_1) | instid1(VALU_DEP_2)
	v_add_nc_u32_e32 v14, v14, v15
	v_mul_lo_u32 v15, s2, v4
	v_add_nc_u32_e32 v14, v14, v16
	s_delay_alu instid0(VALU_DEP_2) | instskip(NEXT) | instid1(VALU_DEP_2)
	v_mul_hi_u32 v16, v4, v15
	v_mul_lo_u32 v17, v4, v14
	v_mul_hi_u32 v18, v4, v14
	v_mul_hi_u32 v20, v5, v15
	v_mul_lo_u32 v15, v5, v15
	v_mul_hi_u32 v21, v5, v14
	v_mul_lo_u32 v14, v5, v14
	v_add_co_u32 v16, vcc_lo, v16, v17
	v_add_co_ci_u32_e32 v17, vcc_lo, 0, v18, vcc_lo
	s_delay_alu instid0(VALU_DEP_2) | instskip(NEXT) | instid1(VALU_DEP_2)
	v_add_co_u32 v15, vcc_lo, v16, v15
	v_add_co_ci_u32_e32 v15, vcc_lo, v17, v20, vcc_lo
	v_add_co_ci_u32_e32 v16, vcc_lo, 0, v21, vcc_lo
	v_add_co_u32 v17, vcc_lo, v10, v19
	v_add_co_ci_u32_e32 v18, vcc_lo, v11, v19, vcc_lo
	s_delay_alu instid0(VALU_DEP_4) | instskip(NEXT) | instid1(VALU_DEP_4)
	v_add_co_u32 v14, vcc_lo, v15, v14
	v_add_co_ci_u32_e32 v15, vcc_lo, 0, v16, vcc_lo
	s_delay_alu instid0(VALU_DEP_4) | instskip(NEXT) | instid1(VALU_DEP_3)
	v_xor_b32_e32 v20, v17, v19
	v_add_co_u32 v16, vcc_lo, v4, v14
	s_delay_alu instid0(VALU_DEP_3) | instskip(SKIP_1) | instid1(VALU_DEP_3)
	v_add_co_ci_u32_e32 v21, vcc_lo, v5, v15, vcc_lo
	v_xor_b32_e32 v18, v18, v19
	v_mul_hi_u32 v22, v20, v16
	s_delay_alu instid0(VALU_DEP_3) | instskip(NEXT) | instid1(VALU_DEP_3)
	v_mad_u64_u32 v[4:5], null, v20, v21, 0
	v_mad_u64_u32 v[14:15], null, v18, v16, 0
	;; [unrolled: 1-line block ×3, first 2 shown]
	s_delay_alu instid0(VALU_DEP_3) | instskip(NEXT) | instid1(VALU_DEP_4)
	v_add_co_u32 v4, vcc_lo, v22, v4
	v_add_co_ci_u32_e32 v5, vcc_lo, 0, v5, vcc_lo
	s_delay_alu instid0(VALU_DEP_2) | instskip(NEXT) | instid1(VALU_DEP_2)
	v_add_co_u32 v4, vcc_lo, v4, v14
	v_add_co_ci_u32_e32 v4, vcc_lo, v5, v15, vcc_lo
	v_add_co_ci_u32_e32 v5, vcc_lo, 0, v17, vcc_lo
	s_delay_alu instid0(VALU_DEP_2) | instskip(NEXT) | instid1(VALU_DEP_2)
	v_add_co_u32 v14, vcc_lo, v4, v16
	v_add_co_ci_u32_e32 v15, vcc_lo, 0, v5, vcc_lo
	s_delay_alu instid0(VALU_DEP_2) | instskip(SKIP_1) | instid1(VALU_DEP_3)
	v_mul_lo_u32 v16, s7, v14
	v_mad_u64_u32 v[4:5], null, s6, v14, 0
	v_mul_lo_u32 v17, s6, v15
	s_delay_alu instid0(VALU_DEP_2) | instskip(NEXT) | instid1(VALU_DEP_2)
	v_sub_co_u32 v4, vcc_lo, v20, v4
	v_add3_u32 v5, v5, v17, v16
	s_delay_alu instid0(VALU_DEP_1) | instskip(NEXT) | instid1(VALU_DEP_1)
	v_sub_nc_u32_e32 v16, v18, v5
	v_subrev_co_ci_u32_e64 v16, s2, s7, v16, vcc_lo
	v_add_co_u32 v17, s2, v14, 2
	s_delay_alu instid0(VALU_DEP_1) | instskip(SKIP_3) | instid1(VALU_DEP_3)
	v_add_co_ci_u32_e64 v20, s2, 0, v15, s2
	v_sub_co_u32 v21, s2, v4, s6
	v_sub_co_ci_u32_e32 v5, vcc_lo, v18, v5, vcc_lo
	v_subrev_co_ci_u32_e64 v16, s2, 0, v16, s2
	v_cmp_le_u32_e32 vcc_lo, s6, v21
	s_delay_alu instid0(VALU_DEP_3) | instskip(SKIP_1) | instid1(VALU_DEP_4)
	v_cmp_eq_u32_e64 s2, s7, v5
	v_cndmask_b32_e64 v18, 0, -1, vcc_lo
	v_cmp_le_u32_e32 vcc_lo, s7, v16
	v_cndmask_b32_e64 v21, 0, -1, vcc_lo
	v_cmp_le_u32_e32 vcc_lo, s6, v4
	v_cndmask_b32_e64 v4, 0, -1, vcc_lo
	v_cmp_le_u32_e32 vcc_lo, s7, v5
	v_cndmask_b32_e64 v22, 0, -1, vcc_lo
	v_cmp_eq_u32_e32 vcc_lo, s7, v16
	s_delay_alu instid0(VALU_DEP_2) | instskip(SKIP_3) | instid1(VALU_DEP_3)
	v_cndmask_b32_e64 v4, v22, v4, s2
	v_cndmask_b32_e32 v16, v21, v18, vcc_lo
	v_add_co_u32 v18, vcc_lo, v14, 1
	v_add_co_ci_u32_e32 v21, vcc_lo, 0, v15, vcc_lo
	v_cmp_ne_u32_e32 vcc_lo, 0, v16
	s_delay_alu instid0(VALU_DEP_2) | instskip(SKIP_2) | instid1(VALU_DEP_3)
	v_dual_cndmask_b32 v5, v21, v20 :: v_dual_cndmask_b32 v16, v18, v17
	v_cmp_ne_u32_e32 vcc_lo, 0, v4
	v_xor_b32_e32 v17, s4, v19
	v_dual_cndmask_b32 v4, v15, v5 :: v_dual_cndmask_b32 v5, v14, v16
	s_delay_alu instid0(VALU_DEP_1) | instskip(NEXT) | instid1(VALU_DEP_2)
	v_xor_b32_e32 v14, v4, v17
	v_xor_b32_e32 v5, v5, v17
	s_delay_alu instid0(VALU_DEP_1) | instskip(NEXT) | instid1(VALU_DEP_3)
	v_sub_co_u32 v4, vcc_lo, v5, v17
	v_sub_co_ci_u32_e32 v5, vcc_lo, v14, v17, vcc_lo
.LBB15_19:
	s_and_not1_saveexec_b32 s2, s9
	s_cbranch_execz .LBB15_21
; %bb.20:
	v_cvt_f32_u32_e32 v4, s3
	s_sub_i32 s4, 0, s3
	s_delay_alu instid0(VALU_DEP_1) | instskip(SKIP_2) | instid1(VALU_DEP_1)
	v_rcp_iflag_f32_e32 v4, v4
	s_waitcnt_depctr 0xfff
	v_mul_f32_e32 v4, 0x4f7ffffe, v4
	v_cvt_u32_f32_e32 v4, v4
	s_delay_alu instid0(VALU_DEP_1) | instskip(NEXT) | instid1(VALU_DEP_1)
	v_mul_lo_u32 v5, s4, v4
	v_mul_hi_u32 v5, v4, v5
	s_delay_alu instid0(VALU_DEP_1) | instskip(NEXT) | instid1(VALU_DEP_1)
	v_add_nc_u32_e32 v4, v4, v5
	v_mul_hi_u32 v4, v10, v4
	s_delay_alu instid0(VALU_DEP_1) | instskip(SKIP_1) | instid1(VALU_DEP_2)
	v_mul_lo_u32 v5, v4, s3
	v_add_nc_u32_e32 v14, 1, v4
	v_sub_nc_u32_e32 v5, v10, v5
	s_delay_alu instid0(VALU_DEP_1) | instskip(SKIP_1) | instid1(VALU_DEP_2)
	v_subrev_nc_u32_e32 v15, s3, v5
	v_cmp_le_u32_e32 vcc_lo, s3, v5
	v_dual_cndmask_b32 v5, v5, v15 :: v_dual_cndmask_b32 v4, v4, v14
	s_delay_alu instid0(VALU_DEP_1) | instskip(NEXT) | instid1(VALU_DEP_2)
	v_cmp_le_u32_e32 vcc_lo, s3, v5
	v_dual_mov_b32 v5, 0 :: v_dual_add_nc_u32 v14, 1, v4
	s_delay_alu instid0(VALU_DEP_1)
	v_cndmask_b32_e32 v4, v4, v14, vcc_lo
.LBB15_21:
	s_or_b32 exec_lo, exec_lo, s2
	s_delay_alu instid0(VALU_DEP_1) | instskip(NEXT) | instid1(VALU_DEP_2)
	v_mul_lo_u32 v16, s8, v4
	v_mul_lo_u32 v17, s3, v5
	v_mad_u64_u32 v[14:15], null, s3, v4, 0
	s_delay_alu instid0(VALU_DEP_1) | instskip(NEXT) | instid1(VALU_DEP_2)
	v_add3_u32 v15, v15, v17, v16
	v_sub_co_u32 v14, vcc_lo, v10, v14
	v_mov_b32_e32 v10, 0
	s_delay_alu instid0(VALU_DEP_3) | instskip(NEXT) | instid1(VALU_DEP_1)
	v_sub_co_ci_u32_e32 v15, vcc_lo, v11, v15, vcc_lo
	v_or_b32_e32 v11, s41, v15
	s_delay_alu instid0(VALU_DEP_1) | instskip(SKIP_1) | instid1(SALU_CYCLE_1)
	v_cmp_ne_u64_e32 vcc_lo, 0, v[10:11]
                                        ; implicit-def: $vgpr10_vgpr11
	s_and_saveexec_b32 s2, vcc_lo
	s_xor_b32 s3, exec_lo, s2
	s_cbranch_execz .LBB15_23
; %bb.22:
	s_ashr_i32 s4, s41, 31
	s_delay_alu instid0(SALU_CYCLE_1) | instskip(SKIP_2) | instid1(SALU_CYCLE_1)
	s_add_u32 s6, s40, s4
	s_mov_b32 s5, s4
	s_addc_u32 s7, s41, s4
	s_xor_b64 s[6:7], s[6:7], s[4:5]
	s_delay_alu instid0(SALU_CYCLE_1) | instskip(SKIP_3) | instid1(VALU_DEP_1)
	v_cvt_f32_u32_e32 v10, s6
	v_cvt_f32_u32_e32 v11, s7
	s_sub_u32 s2, 0, s6
	s_subb_u32 s5, 0, s7
	v_fmamk_f32 v10, v11, 0x4f800000, v10
	s_delay_alu instid0(VALU_DEP_1) | instskip(SKIP_2) | instid1(VALU_DEP_1)
	v_rcp_f32_e32 v10, v10
	s_waitcnt_depctr 0xfff
	v_mul_f32_e32 v10, 0x5f7ffffc, v10
	v_mul_f32_e32 v11, 0x2f800000, v10
	s_delay_alu instid0(VALU_DEP_1) | instskip(NEXT) | instid1(VALU_DEP_1)
	v_trunc_f32_e32 v11, v11
	v_fmamk_f32 v10, v11, 0xcf800000, v10
	v_cvt_u32_f32_e32 v11, v11
	s_delay_alu instid0(VALU_DEP_2) | instskip(NEXT) | instid1(VALU_DEP_2)
	v_cvt_u32_f32_e32 v10, v10
	v_mul_lo_u32 v16, s2, v11
	s_delay_alu instid0(VALU_DEP_2) | instskip(SKIP_1) | instid1(VALU_DEP_2)
	v_mul_hi_u32 v17, s2, v10
	v_mul_lo_u32 v18, s5, v10
	v_add_nc_u32_e32 v16, v17, v16
	v_mul_lo_u32 v17, s2, v10
	s_delay_alu instid0(VALU_DEP_2) | instskip(NEXT) | instid1(VALU_DEP_2)
	v_add_nc_u32_e32 v16, v16, v18
	v_mul_hi_u32 v18, v10, v17
	s_delay_alu instid0(VALU_DEP_2)
	v_mul_lo_u32 v19, v10, v16
	v_mul_hi_u32 v20, v10, v16
	v_mul_hi_u32 v21, v11, v17
	v_mul_lo_u32 v17, v11, v17
	v_mul_hi_u32 v22, v11, v16
	v_mul_lo_u32 v16, v11, v16
	v_add_co_u32 v18, vcc_lo, v18, v19
	v_add_co_ci_u32_e32 v19, vcc_lo, 0, v20, vcc_lo
	s_delay_alu instid0(VALU_DEP_2) | instskip(NEXT) | instid1(VALU_DEP_2)
	v_add_co_u32 v17, vcc_lo, v18, v17
	v_add_co_ci_u32_e32 v17, vcc_lo, v19, v21, vcc_lo
	v_add_co_ci_u32_e32 v18, vcc_lo, 0, v22, vcc_lo
	v_ashrrev_i32_e32 v21, 31, v15
	s_delay_alu instid0(VALU_DEP_3) | instskip(NEXT) | instid1(VALU_DEP_3)
	v_add_co_u32 v16, vcc_lo, v17, v16
	v_add_co_ci_u32_e32 v17, vcc_lo, 0, v18, vcc_lo
	s_delay_alu instid0(VALU_DEP_2) | instskip(NEXT) | instid1(VALU_DEP_2)
	v_add_co_u32 v10, vcc_lo, v10, v16
	v_add_co_ci_u32_e32 v11, vcc_lo, v11, v17, vcc_lo
	s_delay_alu instid0(VALU_DEP_2) | instskip(SKIP_1) | instid1(VALU_DEP_3)
	v_mul_hi_u32 v16, s2, v10
	v_mul_lo_u32 v18, s5, v10
	v_mul_lo_u32 v17, s2, v11
	s_delay_alu instid0(VALU_DEP_1) | instskip(SKIP_1) | instid1(VALU_DEP_2)
	v_add_nc_u32_e32 v16, v16, v17
	v_mul_lo_u32 v17, s2, v10
	v_add_nc_u32_e32 v16, v16, v18
	s_delay_alu instid0(VALU_DEP_2) | instskip(NEXT) | instid1(VALU_DEP_2)
	v_mul_hi_u32 v18, v10, v17
	v_mul_lo_u32 v19, v10, v16
	v_mul_hi_u32 v20, v10, v16
	v_mul_hi_u32 v22, v11, v17
	v_mul_lo_u32 v17, v11, v17
	v_mul_hi_u32 v23, v11, v16
	v_mul_lo_u32 v16, v11, v16
	v_add_co_u32 v18, vcc_lo, v18, v19
	v_add_co_ci_u32_e32 v19, vcc_lo, 0, v20, vcc_lo
	s_delay_alu instid0(VALU_DEP_2) | instskip(NEXT) | instid1(VALU_DEP_2)
	v_add_co_u32 v17, vcc_lo, v18, v17
	v_add_co_ci_u32_e32 v17, vcc_lo, v19, v22, vcc_lo
	v_add_co_ci_u32_e32 v18, vcc_lo, 0, v23, vcc_lo
	v_add_co_u32 v19, vcc_lo, v14, v21
	v_add_co_ci_u32_e32 v20, vcc_lo, v15, v21, vcc_lo
	s_delay_alu instid0(VALU_DEP_4) | instskip(NEXT) | instid1(VALU_DEP_4)
	v_add_co_u32 v16, vcc_lo, v17, v16
	v_add_co_ci_u32_e32 v17, vcc_lo, 0, v18, vcc_lo
	s_delay_alu instid0(VALU_DEP_4) | instskip(NEXT) | instid1(VALU_DEP_3)
	v_xor_b32_e32 v22, v19, v21
	v_add_co_u32 v18, vcc_lo, v10, v16
	s_delay_alu instid0(VALU_DEP_3) | instskip(SKIP_1) | instid1(VALU_DEP_3)
	v_add_co_ci_u32_e32 v23, vcc_lo, v11, v17, vcc_lo
	v_xor_b32_e32 v20, v20, v21
	v_mul_hi_u32 v24, v22, v18
	s_delay_alu instid0(VALU_DEP_3) | instskip(NEXT) | instid1(VALU_DEP_3)
	v_mad_u64_u32 v[10:11], null, v22, v23, 0
	v_mad_u64_u32 v[16:17], null, v20, v18, 0
	;; [unrolled: 1-line block ×3, first 2 shown]
	s_delay_alu instid0(VALU_DEP_3) | instskip(NEXT) | instid1(VALU_DEP_4)
	v_add_co_u32 v10, vcc_lo, v24, v10
	v_add_co_ci_u32_e32 v11, vcc_lo, 0, v11, vcc_lo
	s_delay_alu instid0(VALU_DEP_2) | instskip(NEXT) | instid1(VALU_DEP_2)
	v_add_co_u32 v10, vcc_lo, v10, v16
	v_add_co_ci_u32_e32 v10, vcc_lo, v11, v17, vcc_lo
	v_add_co_ci_u32_e32 v11, vcc_lo, 0, v19, vcc_lo
	s_delay_alu instid0(VALU_DEP_2) | instskip(NEXT) | instid1(VALU_DEP_2)
	v_add_co_u32 v16, vcc_lo, v10, v18
	v_add_co_ci_u32_e32 v17, vcc_lo, 0, v11, vcc_lo
	s_delay_alu instid0(VALU_DEP_2) | instskip(SKIP_1) | instid1(VALU_DEP_3)
	v_mul_lo_u32 v18, s7, v16
	v_mad_u64_u32 v[10:11], null, s6, v16, 0
	v_mul_lo_u32 v19, s6, v17
	s_delay_alu instid0(VALU_DEP_2) | instskip(NEXT) | instid1(VALU_DEP_2)
	v_sub_co_u32 v10, vcc_lo, v22, v10
	v_add3_u32 v11, v11, v19, v18
	s_delay_alu instid0(VALU_DEP_1) | instskip(NEXT) | instid1(VALU_DEP_1)
	v_sub_nc_u32_e32 v18, v20, v11
	v_subrev_co_ci_u32_e64 v18, s2, s7, v18, vcc_lo
	v_add_co_u32 v19, s2, v16, 2
	s_delay_alu instid0(VALU_DEP_1) | instskip(SKIP_3) | instid1(VALU_DEP_3)
	v_add_co_ci_u32_e64 v22, s2, 0, v17, s2
	v_sub_co_u32 v23, s2, v10, s6
	v_sub_co_ci_u32_e32 v11, vcc_lo, v20, v11, vcc_lo
	v_subrev_co_ci_u32_e64 v18, s2, 0, v18, s2
	v_cmp_le_u32_e32 vcc_lo, s6, v23
	s_delay_alu instid0(VALU_DEP_3) | instskip(SKIP_1) | instid1(VALU_DEP_4)
	v_cmp_eq_u32_e64 s2, s7, v11
	v_cndmask_b32_e64 v20, 0, -1, vcc_lo
	v_cmp_le_u32_e32 vcc_lo, s7, v18
	v_cndmask_b32_e64 v23, 0, -1, vcc_lo
	v_cmp_le_u32_e32 vcc_lo, s6, v10
	;; [unrolled: 2-line block ×3, first 2 shown]
	v_cndmask_b32_e64 v24, 0, -1, vcc_lo
	v_cmp_eq_u32_e32 vcc_lo, s7, v18
	s_delay_alu instid0(VALU_DEP_2) | instskip(SKIP_3) | instid1(VALU_DEP_3)
	v_cndmask_b32_e64 v10, v24, v10, s2
	v_cndmask_b32_e32 v18, v23, v20, vcc_lo
	v_add_co_u32 v20, vcc_lo, v16, 1
	v_add_co_ci_u32_e32 v23, vcc_lo, 0, v17, vcc_lo
	v_cmp_ne_u32_e32 vcc_lo, 0, v18
	s_delay_alu instid0(VALU_DEP_2) | instskip(SKIP_2) | instid1(VALU_DEP_3)
	v_dual_cndmask_b32 v11, v23, v22 :: v_dual_cndmask_b32 v18, v20, v19
	v_cmp_ne_u32_e32 vcc_lo, 0, v10
	v_xor_b32_e32 v19, s4, v21
	v_dual_cndmask_b32 v10, v17, v11 :: v_dual_cndmask_b32 v11, v16, v18
	s_delay_alu instid0(VALU_DEP_1) | instskip(NEXT) | instid1(VALU_DEP_2)
	v_xor_b32_e32 v16, v10, v19
	v_xor_b32_e32 v11, v11, v19
	s_delay_alu instid0(VALU_DEP_1) | instskip(NEXT) | instid1(VALU_DEP_3)
	v_sub_co_u32 v10, vcc_lo, v11, v19
	v_sub_co_ci_u32_e32 v11, vcc_lo, v16, v19, vcc_lo
.LBB15_23:
	s_and_not1_saveexec_b32 s2, s3
	s_cbranch_execz .LBB15_25
; %bb.24:
	v_cvt_f32_u32_e32 v10, s40
	s_sub_i32 s3, 0, s40
	s_delay_alu instid0(VALU_DEP_1) | instskip(SKIP_2) | instid1(VALU_DEP_1)
	v_rcp_iflag_f32_e32 v10, v10
	s_waitcnt_depctr 0xfff
	v_mul_f32_e32 v10, 0x4f7ffffe, v10
	v_cvt_u32_f32_e32 v10, v10
	s_delay_alu instid0(VALU_DEP_1) | instskip(NEXT) | instid1(VALU_DEP_1)
	v_mul_lo_u32 v11, s3, v10
	v_mul_hi_u32 v11, v10, v11
	s_delay_alu instid0(VALU_DEP_1) | instskip(NEXT) | instid1(VALU_DEP_1)
	v_add_nc_u32_e32 v10, v10, v11
	v_mul_hi_u32 v10, v14, v10
	s_delay_alu instid0(VALU_DEP_1) | instskip(SKIP_1) | instid1(VALU_DEP_2)
	v_mul_lo_u32 v11, v10, s40
	v_add_nc_u32_e32 v16, 1, v10
	v_sub_nc_u32_e32 v11, v14, v11
	s_delay_alu instid0(VALU_DEP_1) | instskip(SKIP_1) | instid1(VALU_DEP_2)
	v_subrev_nc_u32_e32 v17, s40, v11
	v_cmp_le_u32_e32 vcc_lo, s40, v11
	v_dual_cndmask_b32 v11, v11, v17 :: v_dual_cndmask_b32 v10, v10, v16
	s_delay_alu instid0(VALU_DEP_1) | instskip(NEXT) | instid1(VALU_DEP_2)
	v_cmp_le_u32_e32 vcc_lo, s40, v11
	v_dual_mov_b32 v11, 0 :: v_dual_add_nc_u32 v16, 1, v10
	s_delay_alu instid0(VALU_DEP_1)
	v_cndmask_b32_e32 v10, v10, v16, vcc_lo
.LBB15_25:
	s_or_b32 exec_lo, exec_lo, s2
	v_mul_lo_u32 v18, v7, s22
	v_mul_lo_u32 v19, v6, s23
	v_mad_u64_u32 v[16:17], null, v6, s22, 0
	v_mul_lo_u32 v7, v7, s30
	v_mul_lo_u32 v3, v3, s36
	s_delay_alu instid0(VALU_DEP_3) | instskip(NEXT) | instid1(VALU_DEP_4)
	v_add3_u32 v17, v17, v19, v18
	v_sub_co_u32 v16, vcc_lo, v12, v16
	s_delay_alu instid0(VALU_DEP_2) | instskip(NEXT) | instid1(VALU_DEP_2)
	v_sub_co_ci_u32_e32 v17, vcc_lo, v13, v17, vcc_lo
	v_mul_lo_u32 v18, v16, s29
	v_mad_u64_u32 v[12:13], null, v16, s28, s[16:17]
	s_delay_alu instid0(VALU_DEP_3) | instskip(NEXT) | instid1(VALU_DEP_1)
	v_mul_lo_u32 v16, v17, s28
	v_add3_u32 v13, v16, v13, v18
	v_mul_lo_u32 v18, v6, s31
	s_delay_alu instid0(VALU_DEP_2) | instskip(SKIP_1) | instid1(VALU_DEP_2)
	v_mad_u64_u32 v[16:17], null, v6, s30, v[12:13]
	v_mul_lo_u32 v12, v2, s37
	v_add3_u32 v17, v7, v17, v18
	s_delay_alu instid0(VALU_DEP_1) | instskip(NEXT) | instid1(VALU_DEP_1)
	v_mad_u64_u32 v[6:7], null, v2, s36, v[16:17]
	v_add3_u32 v7, v3, v7, v12
	v_mul_lo_u32 v12, v0, s39
	s_delay_alu instid0(VALU_DEP_2) | instskip(SKIP_1) | instid1(VALU_DEP_1)
	v_mad_u64_u32 v[2:3], null, v0, s38, v[6:7]
	v_mul_lo_u32 v0, v1, s38
	v_add3_u32 v3, v0, v3, v12
	global_load_b32 v1, v[2:3], off
	s_waitcnt vmcnt(0)
	v_and_b32_e32 v0, 0x7f800000, v1
	s_delay_alu instid0(VALU_DEP_1) | instskip(SKIP_1) | instid1(SALU_CYCLE_1)
	v_cmp_ne_u32_e32 vcc_lo, 0x7f800000, v0
                                        ; implicit-def: $vgpr0
	s_and_saveexec_b32 s2, vcc_lo
	s_xor_b32 s2, exec_lo, s2
; %bb.26:
	v_bfe_u32 v0, v1, 16, 1
	s_delay_alu instid0(VALU_DEP_1)
	v_add3_u32 v0, v1, v0, 0x7fff
                                        ; implicit-def: $vgpr1
; %bb.27:
	s_and_not1_saveexec_b32 s2, s2
; %bb.28:
	v_and_b32_e32 v0, 0xffff, v1
	v_or_b32_e32 v2, 0x10000, v1
	s_delay_alu instid0(VALU_DEP_2) | instskip(NEXT) | instid1(VALU_DEP_2)
	v_cmp_eq_u32_e32 vcc_lo, 0, v0
	v_cndmask_b32_e32 v0, v2, v1, vcc_lo
; %bb.29:
	s_or_b32 exec_lo, exec_lo, s2
	v_mul_lo_u32 v3, v11, s40
	v_mul_lo_u32 v6, v10, s41
	v_mad_u64_u32 v[1:2], null, v10, s40, 0
	v_mul_lo_u32 v11, v11, s48
	s_load_b64 s[0:1], s[0:1], 0x80
	v_mul_lo_u32 v5, v5, s50
	s_delay_alu instid0(VALU_DEP_3) | instskip(NEXT) | instid1(VALU_DEP_4)
	v_add3_u32 v2, v2, v6, v3
	v_sub_co_u32 v3, vcc_lo, v14, v1
	s_delay_alu instid0(VALU_DEP_2) | instskip(NEXT) | instid1(VALU_DEP_2)
	v_sub_co_ci_u32_e32 v6, vcc_lo, v15, v2, vcc_lo
	v_mul_lo_u32 v7, v3, s47
	v_mad_u64_u32 v[1:2], null, v3, s46, s[18:19]
	s_delay_alu instid0(VALU_DEP_3) | instskip(NEXT) | instid1(VALU_DEP_1)
	v_mul_lo_u32 v3, v6, s46
	v_add3_u32 v2, v3, v2, v7
	v_mul_lo_u32 v3, v10, s49
	s_delay_alu instid0(VALU_DEP_2) | instskip(NEXT) | instid1(VALU_DEP_1)
	v_mad_u64_u32 v[6:7], null, v10, s48, v[1:2]
	v_add3_u32 v7, v11, v7, v3
	v_mul_lo_u32 v3, v4, s51
	s_delay_alu instid0(VALU_DEP_2) | instskip(NEXT) | instid1(VALU_DEP_1)
	v_mad_u64_u32 v[1:2], null, v4, s50, v[6:7]
	v_add3_u32 v2, v5, v2, v3
	s_waitcnt lgkmcnt(0)
	v_mul_lo_u32 v5, v8, s1
	s_delay_alu instid0(VALU_DEP_2) | instskip(SKIP_1) | instid1(VALU_DEP_1)
	v_mad_u64_u32 v[3:4], null, v8, s0, v[1:2]
	v_mul_lo_u32 v1, v9, s0
	v_add3_u32 v4, v1, v4, v5
	global_store_d16_hi_b16 v[3:4], v0, off
.LBB15_30:
	s_nop 0
	s_sendmsg sendmsg(MSG_DEALLOC_VGPRS)
	s_endpgm
	.section	.rodata,"a",@progbits
	.p2align	6, 0x0
	.amdhsa_kernel _ZL10cpy_scalarIXadL_ZL12cpy_1_scalarIf14__hip_bfloat16EvPKcPcEEEvS3_S4_lllllllllllllll
		.amdhsa_group_segment_fixed_size 0
		.amdhsa_private_segment_fixed_size 0
		.amdhsa_kernarg_size 392
		.amdhsa_user_sgpr_count 15
		.amdhsa_user_sgpr_dispatch_ptr 0
		.amdhsa_user_sgpr_queue_ptr 0
		.amdhsa_user_sgpr_kernarg_segment_ptr 1
		.amdhsa_user_sgpr_dispatch_id 0
		.amdhsa_user_sgpr_private_segment_size 0
		.amdhsa_wavefront_size32 1
		.amdhsa_uses_dynamic_stack 0
		.amdhsa_enable_private_segment 0
		.amdhsa_system_sgpr_workgroup_id_x 1
		.amdhsa_system_sgpr_workgroup_id_y 0
		.amdhsa_system_sgpr_workgroup_id_z 0
		.amdhsa_system_sgpr_workgroup_info 0
		.amdhsa_system_vgpr_workitem_id 0
		.amdhsa_next_free_vgpr 25
		.amdhsa_next_free_sgpr 52
		.amdhsa_reserve_vcc 1
		.amdhsa_float_round_mode_32 0
		.amdhsa_float_round_mode_16_64 0
		.amdhsa_float_denorm_mode_32 3
		.amdhsa_float_denorm_mode_16_64 3
		.amdhsa_dx10_clamp 1
		.amdhsa_ieee_mode 1
		.amdhsa_fp16_overflow 0
		.amdhsa_workgroup_processor_mode 1
		.amdhsa_memory_ordered 1
		.amdhsa_forward_progress 0
		.amdhsa_shared_vgpr_count 0
		.amdhsa_exception_fp_ieee_invalid_op 0
		.amdhsa_exception_fp_denorm_src 0
		.amdhsa_exception_fp_ieee_div_zero 0
		.amdhsa_exception_fp_ieee_overflow 0
		.amdhsa_exception_fp_ieee_underflow 0
		.amdhsa_exception_fp_ieee_inexact 0
		.amdhsa_exception_int_div_zero 0
	.end_amdhsa_kernel
	.section	.text._ZL10cpy_scalarIXadL_ZL12cpy_1_scalarIf14__hip_bfloat16EvPKcPcEEEvS3_S4_lllllllllllllll,"axG",@progbits,_ZL10cpy_scalarIXadL_ZL12cpy_1_scalarIf14__hip_bfloat16EvPKcPcEEEvS3_S4_lllllllllllllll,comdat
.Lfunc_end15:
	.size	_ZL10cpy_scalarIXadL_ZL12cpy_1_scalarIf14__hip_bfloat16EvPKcPcEEEvS3_S4_lllllllllllllll, .Lfunc_end15-_ZL10cpy_scalarIXadL_ZL12cpy_1_scalarIf14__hip_bfloat16EvPKcPcEEEvS3_S4_lllllllllllllll
                                        ; -- End function
	.section	.AMDGPU.csdata,"",@progbits
; Kernel info:
; codeLenInByte = 6916
; NumSgprs: 54
; NumVgprs: 25
; ScratchSize: 0
; MemoryBound: 0
; FloatMode: 240
; IeeeMode: 1
; LDSByteSize: 0 bytes/workgroup (compile time only)
; SGPRBlocks: 6
; VGPRBlocks: 3
; NumSGPRsForWavesPerEU: 54
; NumVGPRsForWavesPerEU: 25
; Occupancy: 16
; WaveLimiterHint : 0
; COMPUTE_PGM_RSRC2:SCRATCH_EN: 0
; COMPUTE_PGM_RSRC2:USER_SGPR: 15
; COMPUTE_PGM_RSRC2:TRAP_HANDLER: 0
; COMPUTE_PGM_RSRC2:TGID_X_EN: 1
; COMPUTE_PGM_RSRC2:TGID_Y_EN: 0
; COMPUTE_PGM_RSRC2:TGID_Z_EN: 0
; COMPUTE_PGM_RSRC2:TIDIG_COMP_CNT: 0
	.section	.text._ZL21cpy_scalar_contiguousIf6__halfEvPKcPcl,"axG",@progbits,_ZL21cpy_scalar_contiguousIf6__halfEvPKcPcl,comdat
	.globl	_ZL21cpy_scalar_contiguousIf6__halfEvPKcPcl ; -- Begin function _ZL21cpy_scalar_contiguousIf6__halfEvPKcPcl
	.p2align	8
	.type	_ZL21cpy_scalar_contiguousIf6__halfEvPKcPcl,@function
_ZL21cpy_scalar_contiguousIf6__halfEvPKcPcl: ; @_ZL21cpy_scalar_contiguousIf6__halfEvPKcPcl
; %bb.0:
	s_clause 0x1
	s_load_b32 s4, s[0:1], 0x24
	s_load_b64 s[2:3], s[0:1], 0x10
	v_mov_b32_e32 v1, 0
	s_waitcnt lgkmcnt(0)
	s_and_b32 s4, s4, 0xffff
	s_delay_alu instid0(VALU_DEP_1) | instid1(SALU_CYCLE_1)
	v_mad_u64_u32 v[2:3], null, s4, s15, v[0:1]
	s_delay_alu instid0(VALU_DEP_1)
	v_cmp_gt_i64_e32 vcc_lo, s[2:3], v[2:3]
	s_and_saveexec_b32 s2, vcc_lo
	s_cbranch_execz .LBB16_2
; %bb.1:
	s_load_b128 s[0:3], s[0:1], 0x0
	v_lshlrev_b64 v[0:1], 2, v[2:3]
	s_waitcnt lgkmcnt(0)
	s_delay_alu instid0(VALU_DEP_1) | instskip(NEXT) | instid1(VALU_DEP_2)
	v_add_co_u32 v0, vcc_lo, s0, v0
	v_add_co_ci_u32_e32 v1, vcc_lo, s1, v1, vcc_lo
	global_load_b32 v4, v[0:1], off
	v_lshlrev_b64 v[0:1], 1, v[2:3]
	s_delay_alu instid0(VALU_DEP_1) | instskip(NEXT) | instid1(VALU_DEP_2)
	v_add_co_u32 v0, vcc_lo, s2, v0
	v_add_co_ci_u32_e32 v1, vcc_lo, s3, v1, vcc_lo
	s_waitcnt vmcnt(0)
	v_cvt_f16_f32_e32 v2, v4
	global_store_b16 v[0:1], v2, off
.LBB16_2:
	s_nop 0
	s_sendmsg sendmsg(MSG_DEALLOC_VGPRS)
	s_endpgm
	.section	.rodata,"a",@progbits
	.p2align	6, 0x0
	.amdhsa_kernel _ZL21cpy_scalar_contiguousIf6__halfEvPKcPcl
		.amdhsa_group_segment_fixed_size 0
		.amdhsa_private_segment_fixed_size 0
		.amdhsa_kernarg_size 280
		.amdhsa_user_sgpr_count 15
		.amdhsa_user_sgpr_dispatch_ptr 0
		.amdhsa_user_sgpr_queue_ptr 0
		.amdhsa_user_sgpr_kernarg_segment_ptr 1
		.amdhsa_user_sgpr_dispatch_id 0
		.amdhsa_user_sgpr_private_segment_size 0
		.amdhsa_wavefront_size32 1
		.amdhsa_uses_dynamic_stack 0
		.amdhsa_enable_private_segment 0
		.amdhsa_system_sgpr_workgroup_id_x 1
		.amdhsa_system_sgpr_workgroup_id_y 0
		.amdhsa_system_sgpr_workgroup_id_z 0
		.amdhsa_system_sgpr_workgroup_info 0
		.amdhsa_system_vgpr_workitem_id 0
		.amdhsa_next_free_vgpr 5
		.amdhsa_next_free_sgpr 16
		.amdhsa_reserve_vcc 1
		.amdhsa_float_round_mode_32 0
		.amdhsa_float_round_mode_16_64 0
		.amdhsa_float_denorm_mode_32 3
		.amdhsa_float_denorm_mode_16_64 3
		.amdhsa_dx10_clamp 1
		.amdhsa_ieee_mode 1
		.amdhsa_fp16_overflow 0
		.amdhsa_workgroup_processor_mode 1
		.amdhsa_memory_ordered 1
		.amdhsa_forward_progress 0
		.amdhsa_shared_vgpr_count 0
		.amdhsa_exception_fp_ieee_invalid_op 0
		.amdhsa_exception_fp_denorm_src 0
		.amdhsa_exception_fp_ieee_div_zero 0
		.amdhsa_exception_fp_ieee_overflow 0
		.amdhsa_exception_fp_ieee_underflow 0
		.amdhsa_exception_fp_ieee_inexact 0
		.amdhsa_exception_int_div_zero 0
	.end_amdhsa_kernel
	.section	.text._ZL21cpy_scalar_contiguousIf6__halfEvPKcPcl,"axG",@progbits,_ZL21cpy_scalar_contiguousIf6__halfEvPKcPcl,comdat
.Lfunc_end16:
	.size	_ZL21cpy_scalar_contiguousIf6__halfEvPKcPcl, .Lfunc_end16-_ZL21cpy_scalar_contiguousIf6__halfEvPKcPcl
                                        ; -- End function
	.section	.AMDGPU.csdata,"",@progbits
; Kernel info:
; codeLenInByte = 160
; NumSgprs: 18
; NumVgprs: 5
; ScratchSize: 0
; MemoryBound: 0
; FloatMode: 240
; IeeeMode: 1
; LDSByteSize: 0 bytes/workgroup (compile time only)
; SGPRBlocks: 2
; VGPRBlocks: 0
; NumSGPRsForWavesPerEU: 18
; NumVGPRsForWavesPerEU: 5
; Occupancy: 16
; WaveLimiterHint : 0
; COMPUTE_PGM_RSRC2:SCRATCH_EN: 0
; COMPUTE_PGM_RSRC2:USER_SGPR: 15
; COMPUTE_PGM_RSRC2:TRAP_HANDLER: 0
; COMPUTE_PGM_RSRC2:TGID_X_EN: 1
; COMPUTE_PGM_RSRC2:TGID_Y_EN: 0
; COMPUTE_PGM_RSRC2:TGID_Z_EN: 0
; COMPUTE_PGM_RSRC2:TIDIG_COMP_CNT: 0
	.section	.text._ZL20cpy_scalar_transposeI6__halfEvPKcPclllllllllllllll,"axG",@progbits,_ZL20cpy_scalar_transposeI6__halfEvPKcPclllllllllllllll,comdat
	.globl	_ZL20cpy_scalar_transposeI6__halfEvPKcPclllllllllllllll ; -- Begin function _ZL20cpy_scalar_transposeI6__halfEvPKcPclllllllllllllll
	.p2align	8
	.type	_ZL20cpy_scalar_transposeI6__halfEvPKcPclllllllllllllll,@function
_ZL20cpy_scalar_transposeI6__halfEvPKcPclllllllllllllll: ; @_ZL20cpy_scalar_transposeI6__halfEvPKcPclllllllllllllll
; %bb.0:
	s_clause 0x1
	s_load_b256 s[4:11], s[0:1], 0x0
	s_load_b64 s[16:17], s[0:1], 0x20
	s_waitcnt lgkmcnt(0)
	s_mul_i32 s0, s16, s11
	s_mul_hi_u32 s1, s16, s10
	s_mul_i32 s2, s17, s10
	s_add_i32 s0, s1, s0
	s_mul_i32 s18, s16, s10
	s_add_i32 s19, s0, s2
	s_delay_alu instid0(SALU_CYCLE_1) | instskip(SKIP_1) | instid1(SALU_CYCLE_1)
	s_or_b64 s[2:3], s[8:9], s[18:19]
	s_mov_b32 s2, 0
	s_cmp_lg_u64 s[2:3], 0
	s_cbranch_scc0 .LBB17_162
; %bb.1:
	s_ashr_i32 s20, s19, 31
	s_delay_alu instid0(SALU_CYCLE_1) | instskip(SKIP_2) | instid1(SALU_CYCLE_1)
	s_add_u32 s0, s18, s20
	s_mov_b32 s21, s20
	s_addc_u32 s1, s19, s20
	s_xor_b64 s[0:1], s[0:1], s[20:21]
	s_delay_alu instid0(SALU_CYCLE_1) | instskip(SKIP_3) | instid1(VALU_DEP_1)
	v_cvt_f32_u32_e32 v1, s0
	v_cvt_f32_u32_e32 v2, s1
	s_sub_u32 s22, 0, s0
	s_subb_u32 s23, 0, s1
	v_fmamk_f32 v1, v2, 0x4f800000, v1
	s_delay_alu instid0(VALU_DEP_1) | instskip(SKIP_2) | instid1(VALU_DEP_1)
	v_rcp_f32_e32 v1, v1
	s_waitcnt_depctr 0xfff
	v_mul_f32_e32 v1, 0x5f7ffffc, v1
	v_mul_f32_e32 v2, 0x2f800000, v1
	s_delay_alu instid0(VALU_DEP_1) | instskip(NEXT) | instid1(VALU_DEP_1)
	v_trunc_f32_e32 v2, v2
	v_fmamk_f32 v1, v2, 0xcf800000, v1
	v_cvt_u32_f32_e32 v2, v2
	s_delay_alu instid0(VALU_DEP_2) | instskip(NEXT) | instid1(VALU_DEP_2)
	v_cvt_u32_f32_e32 v1, v1
	v_readfirstlane_b32 s3, v2
	s_delay_alu instid0(VALU_DEP_2) | instskip(NEXT) | instid1(VALU_DEP_2)
	v_readfirstlane_b32 s12, v1
	s_mul_i32 s24, s22, s3
	s_delay_alu instid0(VALU_DEP_1)
	s_mul_hi_u32 s26, s22, s12
	s_mul_i32 s25, s23, s12
	s_add_i32 s24, s26, s24
	s_mul_i32 s27, s22, s12
	s_add_i32 s24, s24, s25
	s_mul_hi_u32 s26, s12, s27
	s_mul_hi_u32 s28, s3, s27
	s_mul_i32 s25, s3, s27
	s_mul_hi_u32 s27, s12, s24
	s_mul_i32 s12, s12, s24
	s_mul_hi_u32 s29, s3, s24
	s_add_u32 s12, s26, s12
	s_addc_u32 s26, 0, s27
	s_add_u32 s12, s12, s25
	s_mul_i32 s24, s3, s24
	s_addc_u32 s12, s26, s28
	s_addc_u32 s25, s29, 0
	s_add_u32 s12, s12, s24
	s_addc_u32 s24, 0, s25
	v_add_co_u32 v1, s12, v1, s12
	s_delay_alu instid0(VALU_DEP_1) | instskip(SKIP_1) | instid1(VALU_DEP_1)
	s_cmp_lg_u32 s12, 0
	s_addc_u32 s3, s3, s24
	v_readfirstlane_b32 s12, v1
	s_mul_i32 s24, s22, s3
	s_delay_alu instid0(VALU_DEP_1)
	s_mul_hi_u32 s25, s22, s12
	s_mul_i32 s23, s23, s12
	s_add_i32 s24, s25, s24
	s_mul_i32 s22, s22, s12
	s_add_i32 s24, s24, s23
	s_mul_hi_u32 s25, s3, s22
	s_mul_i32 s26, s3, s22
	s_mul_hi_u32 s22, s12, s22
	s_mul_hi_u32 s27, s12, s24
	s_mul_i32 s12, s12, s24
	s_mul_hi_u32 s23, s3, s24
	s_add_u32 s12, s22, s12
	s_addc_u32 s22, 0, s27
	s_add_u32 s12, s12, s26
	s_mul_i32 s24, s3, s24
	s_addc_u32 s12, s22, s25
	s_addc_u32 s22, s23, 0
	s_add_u32 s12, s12, s24
	s_addc_u32 s22, 0, s22
	v_add_co_u32 v1, s12, v1, s12
	s_delay_alu instid0(VALU_DEP_1) | instskip(SKIP_2) | instid1(SALU_CYCLE_1)
	s_cmp_lg_u32 s12, 0
	s_addc_u32 s3, s3, s22
	s_ashr_i32 s22, s9, 31
	s_add_u32 s24, s8, s22
	s_addc_u32 s25, s9, s22
	v_readfirstlane_b32 s9, v1
	s_mov_b32 s23, s22
	s_delay_alu instid0(SALU_CYCLE_1) | instskip(NEXT) | instid1(SALU_CYCLE_1)
	s_xor_b64 s[24:25], s[24:25], s[22:23]
	s_mul_i32 s26, s24, s3
	s_delay_alu instid0(VALU_DEP_1)
	s_mul_hi_u32 s27, s24, s9
	s_mul_hi_u32 s12, s24, s3
	;; [unrolled: 1-line block ×3, first 2 shown]
	s_mul_i32 s9, s25, s9
	s_add_u32 s26, s27, s26
	s_addc_u32 s12, 0, s12
	s_mul_hi_u32 s28, s25, s3
	s_add_u32 s9, s26, s9
	s_mul_i32 s3, s25, s3
	s_addc_u32 s9, s12, s29
	s_addc_u32 s12, s28, 0
	s_add_u32 s3, s9, s3
	s_addc_u32 s9, 0, s12
	s_mul_i32 s28, s0, s3
	s_mul_hi_u32 s12, s0, s3
	s_mul_i32 s27, s0, s9
	v_sub_co_u32 v1, s24, s24, s28
	s_mul_i32 s26, s1, s3
	s_add_i32 s12, s12, s27
	s_delay_alu instid0(SALU_CYCLE_1) | instskip(NEXT) | instid1(VALU_DEP_1)
	s_add_i32 s12, s12, s26
	v_sub_co_u32 v2, s27, v1, s0
	s_sub_i32 s26, s25, s12
	s_cmp_lg_u32 s24, 0
	s_subb_u32 s26, s26, s1
	s_cmp_lg_u32 s27, 0
	v_cmp_le_u32_e32 vcc_lo, s0, v2
	s_subb_u32 s26, s26, 0
	s_delay_alu instid0(SALU_CYCLE_1)
	s_cmp_ge_u32 s26, s1
	v_cndmask_b32_e64 v2, 0, -1, vcc_lo
	s_cselect_b32 s27, -1, 0
	s_cmp_eq_u32 s26, s1
	s_cselect_b32 vcc_lo, -1, 0
	s_add_u32 s26, s3, 1
	v_cndmask_b32_e32 v2, s27, v2, vcc_lo
	s_addc_u32 s27, s9, 0
	s_add_u32 s28, s3, 2
	s_addc_u32 s29, s9, 0
	v_mov_b32_e32 v3, s28
	s_cmp_lg_u32 s24, 0
	v_cmp_le_u32_e32 vcc_lo, s0, v1
	s_subb_u32 s0, s25, s12
	s_delay_alu instid0(SALU_CYCLE_1)
	s_cmp_ge_u32 s0, s1
	v_cndmask_b32_e64 v1, 0, -1, vcc_lo
	s_cselect_b32 s12, -1, 0
	s_cmp_eq_u32 s0, s1
	v_cmp_ne_u32_e32 vcc_lo, 0, v2
	s_cselect_b32 s0, -1, 0
	v_mov_b32_e32 v2, s29
	v_cndmask_b32_e64 v1, s12, v1, s0
	s_xor_b64 s[0:1], s[22:23], s[20:21]
	v_cndmask_b32_e32 v3, s26, v3, vcc_lo
	s_delay_alu instid0(VALU_DEP_3) | instskip(NEXT) | instid1(VALU_DEP_3)
	v_cndmask_b32_e32 v2, s27, v2, vcc_lo
	v_cmp_ne_u32_e32 vcc_lo, 0, v1
	s_delay_alu instid0(VALU_DEP_2) | instskip(NEXT) | instid1(VALU_DEP_4)
	v_cndmask_b32_e32 v1, s9, v2, vcc_lo
	v_cndmask_b32_e32 v2, s3, v3, vcc_lo
	s_delay_alu instid0(VALU_DEP_2) | instskip(NEXT) | instid1(VALU_DEP_2)
	v_xor_b32_e32 v1, s1, v1
	v_xor_b32_e32 v2, s0, v2
	s_delay_alu instid0(VALU_DEP_1) | instskip(NEXT) | instid1(VALU_DEP_3)
	v_sub_co_u32 v4, vcc_lo, v2, s0
	v_subrev_co_ci_u32_e32 v5, vcc_lo, s1, v1, vcc_lo
	s_and_not1_b32 vcc_lo, exec_lo, s2
	s_cbranch_vccnz .LBB17_3
.LBB17_2:
	v_cvt_f32_u32_e32 v1, s18
	s_sub_i32 s1, 0, s18
	s_delay_alu instid0(VALU_DEP_1) | instskip(SKIP_2) | instid1(VALU_DEP_1)
	v_rcp_iflag_f32_e32 v1, v1
	s_waitcnt_depctr 0xfff
	v_mul_f32_e32 v1, 0x4f7ffffe, v1
	v_cvt_u32_f32_e32 v1, v1
	s_delay_alu instid0(VALU_DEP_1) | instskip(NEXT) | instid1(VALU_DEP_1)
	v_readfirstlane_b32 s0, v1
	s_mul_i32 s1, s1, s0
	s_delay_alu instid0(SALU_CYCLE_1) | instskip(NEXT) | instid1(SALU_CYCLE_1)
	s_mul_hi_u32 s1, s0, s1
	s_add_i32 s0, s0, s1
	s_delay_alu instid0(SALU_CYCLE_1) | instskip(NEXT) | instid1(SALU_CYCLE_1)
	s_mul_hi_u32 s0, s8, s0
	s_mul_i32 s1, s0, s18
	s_add_i32 s2, s0, 1
	s_sub_i32 s1, s8, s1
	s_delay_alu instid0(SALU_CYCLE_1)
	s_sub_i32 s3, s1, s18
	s_cmp_ge_u32 s1, s18
	s_cselect_b32 s0, s2, s0
	s_cselect_b32 s1, s3, s1
	s_add_i32 s2, s0, 1
	s_cmp_ge_u32 s1, s18
	s_mov_b32 s1, 0
	s_cselect_b32 s0, s2, s0
	s_delay_alu instid0(SALU_CYCLE_1)
	v_dual_mov_b32 v5, s1 :: v_dual_mov_b32 v4, s0
.LBB17_3:
	v_and_b32_e32 v9, 0x3ff, v0
	s_lshl_b32 s0, s13, 5
	s_lshl_b32 s1, s14, 5
	v_bfe_u32 v8, v0, 10, 10
	s_lshl_b32 s8, s15, 3
	v_add_nc_u32_e32 v6, s0, v9
	v_add_nc_u32_e32 v10, s1, v9
	s_mov_b32 s9, 0
	v_add_nc_u32_e32 v2, s1, v8
	v_cmp_lt_i64_e64 s2, s[8:9], v[4:5]
	v_ashrrev_i32_e32 v7, 31, v6
	v_ashrrev_i32_e32 v11, 31, v10
	v_add_nc_u32_e32 v0, s0, v8
	v_lshlrev_b32_e32 v12, 2, v9
	s_delay_alu instid0(VALU_DEP_4) | instskip(SKIP_3) | instid1(VALU_DEP_4)
	v_lshlrev_b64 v[13:14], 1, v[6:7]
	v_cmp_gt_i64_e64 s1, s[16:17], v[6:7]
	v_lshlrev_b64 v[6:7], 1, v[10:11]
	v_cmp_le_i64_e64 s0, s[10:11], v[10:11]
	v_add_co_u32 v13, vcc_lo, s4, v13
	v_add_co_ci_u32_e32 v14, vcc_lo, s5, v14, vcc_lo
	s_delay_alu instid0(VALU_DEP_4)
	v_add_co_u32 v10, vcc_lo, s6, v6
	v_add_co_ci_u32_e32 v11, vcc_lo, s7, v7, vcc_lo
	s_and_b32 vcc_lo, exec_lo, s2
	s_cbranch_vccz .LBB17_22
; %bb.4:
	s_mul_i32 s3, s19, s8
	s_mul_hi_u32 s4, s18, s8
	s_delay_alu instid0(SALU_CYCLE_1)
	s_add_i32 s5, s4, s3
	s_mul_i32 s4, s18, s8
	s_and_saveexec_b32 s3, s1
	s_cbranch_execz .LBB17_13
; %bb.5:
	s_lshl_b64 s[6:7], s[4:5], 1
	v_ashrrev_i32_e32 v3, 31, v2
	v_add_co_u32 v1, vcc_lo, v13, s6
	v_add_co_ci_u32_e32 v15, vcc_lo, s7, v14, vcc_lo
	v_mad_u32_u24 v16, 0x84, v8, v12
	s_mov_b32 s6, exec_lo
	v_cmpx_gt_i64_e64 s[10:11], v[2:3]
	s_cbranch_execz .LBB17_7
; %bb.6:
	v_mul_lo_u32 v3, v3, s16
	v_mul_lo_u32 v17, v2, s17
	v_mad_u64_u32 v[6:7], null, v2, s16, 0
	s_delay_alu instid0(VALU_DEP_1) | instskip(NEXT) | instid1(VALU_DEP_1)
	v_add3_u32 v7, v7, v17, v3
	v_lshlrev_b64 v[6:7], 1, v[6:7]
	s_delay_alu instid0(VALU_DEP_1) | instskip(NEXT) | instid1(VALU_DEP_2)
	v_add_co_u32 v6, vcc_lo, v1, v6
	v_add_co_ci_u32_e32 v7, vcc_lo, v15, v7, vcc_lo
	global_load_u16 v3, v[6:7], off
	s_waitcnt vmcnt(0)
	ds_store_b16 v16, v3
.LBB17_7:
	s_or_b32 exec_lo, exec_lo, s6
	v_add_nc_u32_e32 v6, 8, v2
	s_mov_b32 s6, exec_lo
	s_delay_alu instid0(VALU_DEP_1) | instskip(NEXT) | instid1(VALU_DEP_1)
	v_ashrrev_i32_e32 v7, 31, v6
	v_cmpx_gt_i64_e64 s[10:11], v[6:7]
	s_cbranch_execz .LBB17_9
; %bb.8:
	v_mul_lo_u32 v3, v7, s16
	v_mul_lo_u32 v7, v6, s17
	v_mad_u64_u32 v[17:18], null, v6, s16, 0
	s_delay_alu instid0(VALU_DEP_1) | instskip(NEXT) | instid1(VALU_DEP_1)
	v_add3_u32 v18, v18, v7, v3
	v_lshlrev_b64 v[6:7], 1, v[17:18]
	s_delay_alu instid0(VALU_DEP_1) | instskip(NEXT) | instid1(VALU_DEP_2)
	v_add_co_u32 v6, vcc_lo, v1, v6
	v_add_co_ci_u32_e32 v7, vcc_lo, v15, v7, vcc_lo
	global_load_u16 v3, v[6:7], off
	s_waitcnt vmcnt(0)
	ds_store_b16 v16, v3 offset:1056
.LBB17_9:
	s_or_b32 exec_lo, exec_lo, s6
	v_add_nc_u32_e32 v6, 16, v2
	s_mov_b32 s6, exec_lo
	s_delay_alu instid0(VALU_DEP_1) | instskip(NEXT) | instid1(VALU_DEP_1)
	v_ashrrev_i32_e32 v7, 31, v6
	v_cmpx_gt_i64_e64 s[10:11], v[6:7]
	s_cbranch_execz .LBB17_11
; %bb.10:
	v_mul_lo_u32 v3, v7, s16
	v_mul_lo_u32 v7, v6, s17
	v_mad_u64_u32 v[17:18], null, v6, s16, 0
	s_delay_alu instid0(VALU_DEP_1) | instskip(NEXT) | instid1(VALU_DEP_1)
	v_add3_u32 v18, v18, v7, v3
	v_lshlrev_b64 v[6:7], 1, v[17:18]
	s_delay_alu instid0(VALU_DEP_1) | instskip(NEXT) | instid1(VALU_DEP_2)
	v_add_co_u32 v6, vcc_lo, v1, v6
	v_add_co_ci_u32_e32 v7, vcc_lo, v15, v7, vcc_lo
	global_load_u16 v3, v[6:7], off
	s_waitcnt vmcnt(0)
	ds_store_b16 v16, v3 offset:2112
.LBB17_11:
	s_or_b32 exec_lo, exec_lo, s6
	v_add_nc_u32_e32 v6, 24, v2
	s_delay_alu instid0(VALU_DEP_1) | instskip(NEXT) | instid1(VALU_DEP_1)
	v_ashrrev_i32_e32 v7, 31, v6
	v_cmp_gt_i64_e32 vcc_lo, s[10:11], v[6:7]
	s_and_b32 exec_lo, exec_lo, vcc_lo
	s_cbranch_execz .LBB17_13
; %bb.12:
	v_mul_lo_u32 v3, v7, s16
	v_mul_lo_u32 v7, v6, s17
	v_mad_u64_u32 v[17:18], null, v6, s16, 0
	s_delay_alu instid0(VALU_DEP_1) | instskip(NEXT) | instid1(VALU_DEP_1)
	v_add3_u32 v18, v18, v7, v3
	v_lshlrev_b64 v[6:7], 1, v[17:18]
	s_delay_alu instid0(VALU_DEP_1) | instskip(NEXT) | instid1(VALU_DEP_2)
	v_add_co_u32 v6, vcc_lo, v1, v6
	v_add_co_ci_u32_e32 v7, vcc_lo, v15, v7, vcc_lo
	global_load_u16 v1, v[6:7], off
	s_waitcnt vmcnt(0)
	ds_store_b16 v16, v1 offset:3168
.LBB17_13:
	s_or_b32 exec_lo, exec_lo, s3
	v_ashrrev_i32_e32 v1, 31, v0
	v_lshl_add_u32 v6, v9, 7, v12
	s_lshl_b64 s[4:5], s[4:5], 1
	s_waitcnt lgkmcnt(0)
	v_add_co_u32 v3, s3, v10, s4
	v_cmp_gt_i64_e32 vcc_lo, s[16:17], v[0:1]
	v_add_co_ci_u32_e64 v15, s3, s5, v11, s3
	v_lshl_add_u32 v16, v8, 2, v6
	s_xor_b32 s3, s0, -1
	s_barrier
	s_and_b32 s5, vcc_lo, s3
	buffer_gl0_inv
	s_and_saveexec_b32 s4, s5
	s_cbranch_execz .LBB17_15
; %bb.14:
	v_mul_lo_u32 v1, v1, s10
	v_mul_lo_u32 v17, v0, s11
	v_mad_u64_u32 v[6:7], null, v0, s10, 0
	ds_load_u16 v18, v16
	v_add3_u32 v7, v7, v17, v1
	s_delay_alu instid0(VALU_DEP_1) | instskip(NEXT) | instid1(VALU_DEP_1)
	v_lshlrev_b64 v[6:7], 1, v[6:7]
	v_add_co_u32 v6, vcc_lo, v3, v6
	s_delay_alu instid0(VALU_DEP_2)
	v_add_co_ci_u32_e32 v7, vcc_lo, v15, v7, vcc_lo
	s_waitcnt lgkmcnt(0)
	global_store_b16 v[6:7], v18, off
.LBB17_15:
	s_or_b32 exec_lo, exec_lo, s4
	v_add_nc_u32_e32 v6, 8, v0
	s_delay_alu instid0(VALU_DEP_1) | instskip(NEXT) | instid1(VALU_DEP_1)
	v_ashrrev_i32_e32 v7, 31, v6
	v_cmp_gt_i64_e32 vcc_lo, s[16:17], v[6:7]
	s_and_b32 s5, vcc_lo, s3
	s_delay_alu instid0(SALU_CYCLE_1)
	s_and_saveexec_b32 s4, s5
	s_cbranch_execz .LBB17_17
; %bb.16:
	v_mul_lo_u32 v1, v7, s10
	v_mul_lo_u32 v7, v6, s11
	v_mad_u64_u32 v[17:18], null, v6, s10, 0
	ds_load_u16 v19, v16 offset:32
	v_add3_u32 v18, v18, v7, v1
	s_delay_alu instid0(VALU_DEP_1) | instskip(NEXT) | instid1(VALU_DEP_1)
	v_lshlrev_b64 v[6:7], 1, v[17:18]
	v_add_co_u32 v6, vcc_lo, v3, v6
	s_delay_alu instid0(VALU_DEP_2)
	v_add_co_ci_u32_e32 v7, vcc_lo, v15, v7, vcc_lo
	s_waitcnt lgkmcnt(0)
	global_store_b16 v[6:7], v19, off
.LBB17_17:
	s_or_b32 exec_lo, exec_lo, s4
	v_add_nc_u32_e32 v6, 16, v0
	s_delay_alu instid0(VALU_DEP_1) | instskip(NEXT) | instid1(VALU_DEP_1)
	v_ashrrev_i32_e32 v7, 31, v6
	v_cmp_gt_i64_e32 vcc_lo, s[16:17], v[6:7]
	s_and_b32 s5, vcc_lo, s3
	s_delay_alu instid0(SALU_CYCLE_1)
	s_and_saveexec_b32 s4, s5
	s_cbranch_execz .LBB17_19
; %bb.18:
	v_mul_lo_u32 v1, v7, s10
	v_mul_lo_u32 v7, v6, s11
	v_mad_u64_u32 v[17:18], null, v6, s10, 0
	ds_load_u16 v19, v16 offset:64
	v_add3_u32 v18, v18, v7, v1
	s_delay_alu instid0(VALU_DEP_1) | instskip(NEXT) | instid1(VALU_DEP_1)
	v_lshlrev_b64 v[6:7], 1, v[17:18]
	v_add_co_u32 v6, vcc_lo, v3, v6
	s_delay_alu instid0(VALU_DEP_2)
	v_add_co_ci_u32_e32 v7, vcc_lo, v15, v7, vcc_lo
	s_waitcnt lgkmcnt(0)
	global_store_b16 v[6:7], v19, off
.LBB17_19:
	;; [unrolled: 23-line block ×3, first 2 shown]
	s_or_b32 exec_lo, exec_lo, s3
	s_mov_b32 s9, 1
.LBB17_22:
	s_and_b32 vcc_lo, exec_lo, s2
	s_cbranch_vccz .LBB17_161
; %bb.23:
	s_or_b32 s4, s8, 1
	s_mov_b32 s5, 0
	s_delay_alu instid0(SALU_CYCLE_1)
	v_cmp_ge_u64_e32 vcc_lo, s[4:5], v[4:5]
	v_cmp_lt_u64_e64 s2, s[4:5], v[4:5]
	s_cbranch_vccnz .LBB17_42
; %bb.24:
	s_mul_i32 s3, s19, s4
	s_mul_hi_u32 s5, s18, s4
	s_mul_i32 s4, s18, s4
	s_add_i32 s5, s5, s3
	s_mul_i32 s6, s9, 0x1080
	s_and_saveexec_b32 s7, s1
	s_cbranch_execz .LBB17_33
; %bb.25:
	s_lshl_b64 s[12:13], s[4:5], 1
	v_ashrrev_i32_e32 v3, 31, v2
	v_add_co_u32 v1, s3, v13, s12
	s_delay_alu instid0(VALU_DEP_1) | instskip(SKIP_1) | instid1(VALU_DEP_3)
	v_add_co_ci_u32_e64 v15, s3, s13, v14, s3
	s_mov_b32 s3, exec_lo
	v_cmpx_gt_i64_e64 s[10:11], v[2:3]
	s_cbranch_execz .LBB17_27
; %bb.26:
	v_mul_lo_u32 v3, v3, s16
	v_mul_lo_u32 v16, v2, s17
	v_mad_u64_u32 v[6:7], null, v2, s16, 0
	s_delay_alu instid0(VALU_DEP_1) | instskip(NEXT) | instid1(VALU_DEP_1)
	v_add3_u32 v7, v7, v16, v3
	v_lshlrev_b64 v[6:7], 1, v[6:7]
	s_delay_alu instid0(VALU_DEP_1) | instskip(NEXT) | instid1(VALU_DEP_2)
	v_add_co_u32 v6, vcc_lo, v1, v6
	v_add_co_ci_u32_e32 v7, vcc_lo, v15, v7, vcc_lo
	global_load_u16 v3, v[6:7], off
	v_mul_u32_u24_e32 v6, 0x84, v8
	s_delay_alu instid0(VALU_DEP_1)
	v_add3_u32 v6, v12, s6, v6
	s_waitcnt vmcnt(0)
	ds_store_b16 v6, v3
.LBB17_27:
	s_or_b32 exec_lo, exec_lo, s3
	v_add_nc_u32_e32 v6, 8, v2
	s_mov_b32 s3, exec_lo
	s_delay_alu instid0(VALU_DEP_1) | instskip(NEXT) | instid1(VALU_DEP_1)
	v_ashrrev_i32_e32 v7, 31, v6
	v_cmpx_gt_i64_e64 s[10:11], v[6:7]
	s_cbranch_execz .LBB17_29
; %bb.28:
	v_mul_lo_u32 v3, v7, s16
	v_mul_lo_u32 v7, v6, s17
	v_mad_u64_u32 v[16:17], null, v6, s16, 0
	s_delay_alu instid0(VALU_DEP_1) | instskip(NEXT) | instid1(VALU_DEP_1)
	v_add3_u32 v17, v17, v7, v3
	v_lshlrev_b64 v[6:7], 1, v[16:17]
	s_delay_alu instid0(VALU_DEP_1) | instskip(NEXT) | instid1(VALU_DEP_2)
	v_add_co_u32 v6, vcc_lo, v1, v6
	v_add_co_ci_u32_e32 v7, vcc_lo, v15, v7, vcc_lo
	global_load_u16 v3, v[6:7], off
	v_mul_u32_u24_e32 v6, 0x84, v8
	s_delay_alu instid0(VALU_DEP_1)
	v_add3_u32 v6, v12, s6, v6
	s_waitcnt vmcnt(0)
	ds_store_b16 v6, v3 offset:1056
.LBB17_29:
	s_or_b32 exec_lo, exec_lo, s3
	v_add_nc_u32_e32 v6, 16, v2
	s_mov_b32 s3, exec_lo
	s_delay_alu instid0(VALU_DEP_1) | instskip(NEXT) | instid1(VALU_DEP_1)
	v_ashrrev_i32_e32 v7, 31, v6
	v_cmpx_gt_i64_e64 s[10:11], v[6:7]
	s_cbranch_execz .LBB17_31
; %bb.30:
	v_mul_lo_u32 v3, v7, s16
	v_mul_lo_u32 v7, v6, s17
	v_mad_u64_u32 v[16:17], null, v6, s16, 0
	s_delay_alu instid0(VALU_DEP_1) | instskip(NEXT) | instid1(VALU_DEP_1)
	v_add3_u32 v17, v17, v7, v3
	v_lshlrev_b64 v[6:7], 1, v[16:17]
	s_delay_alu instid0(VALU_DEP_1) | instskip(NEXT) | instid1(VALU_DEP_2)
	v_add_co_u32 v6, vcc_lo, v1, v6
	v_add_co_ci_u32_e32 v7, vcc_lo, v15, v7, vcc_lo
	global_load_u16 v3, v[6:7], off
	v_mul_u32_u24_e32 v6, 0x84, v8
	s_delay_alu instid0(VALU_DEP_1)
	v_add3_u32 v6, v12, s6, v6
	s_waitcnt vmcnt(0)
	ds_store_b16 v6, v3 offset:2112
.LBB17_31:
	s_or_b32 exec_lo, exec_lo, s3
	v_add_nc_u32_e32 v6, 24, v2
	s_delay_alu instid0(VALU_DEP_1) | instskip(NEXT) | instid1(VALU_DEP_1)
	v_ashrrev_i32_e32 v7, 31, v6
	v_cmp_gt_i64_e32 vcc_lo, s[10:11], v[6:7]
	s_and_b32 exec_lo, exec_lo, vcc_lo
	s_cbranch_execz .LBB17_33
; %bb.32:
	v_mul_lo_u32 v3, v7, s16
	v_mul_lo_u32 v7, v6, s17
	v_mad_u64_u32 v[16:17], null, v6, s16, 0
	s_delay_alu instid0(VALU_DEP_1) | instskip(SKIP_1) | instid1(VALU_DEP_2)
	v_add3_u32 v17, v17, v7, v3
	v_mul_u32_u24_e32 v3, 0x84, v8
	v_lshlrev_b64 v[6:7], 1, v[16:17]
	s_delay_alu instid0(VALU_DEP_2) | instskip(NEXT) | instid1(VALU_DEP_2)
	v_add3_u32 v3, v12, s6, v3
	v_add_co_u32 v6, vcc_lo, v1, v6
	s_delay_alu instid0(VALU_DEP_3)
	v_add_co_ci_u32_e32 v7, vcc_lo, v15, v7, vcc_lo
	global_load_u16 v1, v[6:7], off
	s_waitcnt vmcnt(0)
	ds_store_b16 v3, v1 offset:3168
.LBB17_33:
	s_or_b32 exec_lo, exec_lo, s7
	v_ashrrev_i32_e32 v1, 31, v0
	v_mad_u32_u24 v6, 0x84, v9, s6
	s_lshl_b64 s[4:5], s[4:5], 1
	s_waitcnt lgkmcnt(0)
	s_waitcnt_vscnt null, 0x0
	v_add_co_u32 v3, s3, v10, s4
	v_cmp_gt_i64_e32 vcc_lo, s[16:17], v[0:1]
	v_add_co_ci_u32_e64 v15, s3, s5, v11, s3
	v_lshl_add_u32 v16, v8, 2, v6
	s_xor_b32 s3, s0, -1
	s_barrier
	s_and_b32 s5, vcc_lo, s3
	buffer_gl0_inv
	s_and_saveexec_b32 s4, s5
	s_cbranch_execz .LBB17_35
; %bb.34:
	v_mul_lo_u32 v1, v1, s10
	v_mul_lo_u32 v17, v0, s11
	v_mad_u64_u32 v[6:7], null, v0, s10, 0
	ds_load_u16 v18, v16
	v_add3_u32 v7, v7, v17, v1
	s_delay_alu instid0(VALU_DEP_1) | instskip(NEXT) | instid1(VALU_DEP_1)
	v_lshlrev_b64 v[6:7], 1, v[6:7]
	v_add_co_u32 v6, vcc_lo, v3, v6
	s_delay_alu instid0(VALU_DEP_2)
	v_add_co_ci_u32_e32 v7, vcc_lo, v15, v7, vcc_lo
	s_waitcnt lgkmcnt(0)
	global_store_b16 v[6:7], v18, off
.LBB17_35:
	s_or_b32 exec_lo, exec_lo, s4
	v_add_nc_u32_e32 v6, 8, v0
	s_delay_alu instid0(VALU_DEP_1) | instskip(NEXT) | instid1(VALU_DEP_1)
	v_ashrrev_i32_e32 v7, 31, v6
	v_cmp_gt_i64_e32 vcc_lo, s[16:17], v[6:7]
	s_and_b32 s5, vcc_lo, s3
	s_delay_alu instid0(SALU_CYCLE_1)
	s_and_saveexec_b32 s4, s5
	s_cbranch_execz .LBB17_37
; %bb.36:
	v_mul_lo_u32 v1, v7, s10
	v_mul_lo_u32 v7, v6, s11
	v_mad_u64_u32 v[17:18], null, v6, s10, 0
	ds_load_u16 v19, v16 offset:32
	v_add3_u32 v18, v18, v7, v1
	s_delay_alu instid0(VALU_DEP_1) | instskip(NEXT) | instid1(VALU_DEP_1)
	v_lshlrev_b64 v[6:7], 1, v[17:18]
	v_add_co_u32 v6, vcc_lo, v3, v6
	s_delay_alu instid0(VALU_DEP_2)
	v_add_co_ci_u32_e32 v7, vcc_lo, v15, v7, vcc_lo
	s_waitcnt lgkmcnt(0)
	global_store_b16 v[6:7], v19, off
.LBB17_37:
	s_or_b32 exec_lo, exec_lo, s4
	v_add_nc_u32_e32 v6, 16, v0
	s_delay_alu instid0(VALU_DEP_1) | instskip(NEXT) | instid1(VALU_DEP_1)
	v_ashrrev_i32_e32 v7, 31, v6
	v_cmp_gt_i64_e32 vcc_lo, s[16:17], v[6:7]
	s_and_b32 s5, vcc_lo, s3
	s_delay_alu instid0(SALU_CYCLE_1)
	s_and_saveexec_b32 s4, s5
	s_cbranch_execz .LBB17_39
; %bb.38:
	v_mul_lo_u32 v1, v7, s10
	v_mul_lo_u32 v7, v6, s11
	v_mad_u64_u32 v[17:18], null, v6, s10, 0
	ds_load_u16 v19, v16 offset:64
	v_add3_u32 v18, v18, v7, v1
	s_delay_alu instid0(VALU_DEP_1) | instskip(NEXT) | instid1(VALU_DEP_1)
	v_lshlrev_b64 v[6:7], 1, v[17:18]
	v_add_co_u32 v6, vcc_lo, v3, v6
	s_delay_alu instid0(VALU_DEP_2)
	v_add_co_ci_u32_e32 v7, vcc_lo, v15, v7, vcc_lo
	s_waitcnt lgkmcnt(0)
	global_store_b16 v[6:7], v19, off
.LBB17_39:
	s_or_b32 exec_lo, exec_lo, s4
	v_add_nc_u32_e32 v6, 24, v0
	s_delay_alu instid0(VALU_DEP_1) | instskip(NEXT) | instid1(VALU_DEP_1)
	v_ashrrev_i32_e32 v7, 31, v6
	v_cmp_gt_i64_e32 vcc_lo, s[16:17], v[6:7]
	s_and_b32 s4, vcc_lo, s3
	s_delay_alu instid0(SALU_CYCLE_1)
	s_and_saveexec_b32 s3, s4
	s_cbranch_execz .LBB17_41
; %bb.40:
	v_mul_lo_u32 v1, v7, s10
	v_mul_lo_u32 v7, v6, s11
	v_mad_u64_u32 v[17:18], null, v6, s10, 0
	ds_load_u16 v16, v16 offset:96
	v_add3_u32 v18, v18, v7, v1
	s_delay_alu instid0(VALU_DEP_1) | instskip(NEXT) | instid1(VALU_DEP_1)
	v_lshlrev_b64 v[6:7], 1, v[17:18]
	v_add_co_u32 v6, vcc_lo, v3, v6
	s_delay_alu instid0(VALU_DEP_2)
	v_add_co_ci_u32_e32 v7, vcc_lo, v15, v7, vcc_lo
	s_waitcnt lgkmcnt(0)
	global_store_b16 v[6:7], v16, off
.LBB17_41:
	s_or_b32 exec_lo, exec_lo, s3
	s_xor_b32 s9, s9, 1
.LBB17_42:
	s_delay_alu instid0(VALU_DEP_1)
	s_and_not1_b32 vcc_lo, exec_lo, s2
	s_cbranch_vccnz .LBB17_161
; %bb.43:
	s_or_b32 s4, s8, 2
	s_mov_b32 s5, 0
	s_delay_alu instid0(SALU_CYCLE_1)
	v_cmp_ge_u64_e32 vcc_lo, s[4:5], v[4:5]
	v_cmp_lt_u64_e64 s2, s[4:5], v[4:5]
	s_cbranch_vccnz .LBB17_62
; %bb.44:
	s_mul_i32 s3, s19, s4
	s_mul_hi_u32 s5, s18, s4
	s_mul_i32 s4, s18, s4
	s_add_i32 s5, s5, s3
	s_mul_i32 s6, s9, 0x1080
	s_and_saveexec_b32 s7, s1
	s_cbranch_execz .LBB17_53
; %bb.45:
	s_lshl_b64 s[12:13], s[4:5], 1
	v_ashrrev_i32_e32 v3, 31, v2
	v_add_co_u32 v1, s3, v13, s12
	s_delay_alu instid0(VALU_DEP_1) | instskip(SKIP_1) | instid1(VALU_DEP_3)
	v_add_co_ci_u32_e64 v15, s3, s13, v14, s3
	s_mov_b32 s3, exec_lo
	v_cmpx_gt_i64_e64 s[10:11], v[2:3]
	s_cbranch_execz .LBB17_47
; %bb.46:
	v_mul_lo_u32 v3, v3, s16
	v_mul_lo_u32 v16, v2, s17
	v_mad_u64_u32 v[6:7], null, v2, s16, 0
	s_delay_alu instid0(VALU_DEP_1) | instskip(NEXT) | instid1(VALU_DEP_1)
	v_add3_u32 v7, v7, v16, v3
	v_lshlrev_b64 v[6:7], 1, v[6:7]
	s_delay_alu instid0(VALU_DEP_1) | instskip(NEXT) | instid1(VALU_DEP_2)
	v_add_co_u32 v6, vcc_lo, v1, v6
	v_add_co_ci_u32_e32 v7, vcc_lo, v15, v7, vcc_lo
	global_load_u16 v3, v[6:7], off
	v_mul_u32_u24_e32 v6, 0x84, v8
	s_delay_alu instid0(VALU_DEP_1)
	v_add3_u32 v6, v12, s6, v6
	s_waitcnt vmcnt(0)
	ds_store_b16 v6, v3
.LBB17_47:
	s_or_b32 exec_lo, exec_lo, s3
	v_add_nc_u32_e32 v6, 8, v2
	s_mov_b32 s3, exec_lo
	s_delay_alu instid0(VALU_DEP_1) | instskip(NEXT) | instid1(VALU_DEP_1)
	v_ashrrev_i32_e32 v7, 31, v6
	v_cmpx_gt_i64_e64 s[10:11], v[6:7]
	s_cbranch_execz .LBB17_49
; %bb.48:
	v_mul_lo_u32 v3, v7, s16
	v_mul_lo_u32 v7, v6, s17
	v_mad_u64_u32 v[16:17], null, v6, s16, 0
	s_delay_alu instid0(VALU_DEP_1) | instskip(NEXT) | instid1(VALU_DEP_1)
	v_add3_u32 v17, v17, v7, v3
	v_lshlrev_b64 v[6:7], 1, v[16:17]
	s_delay_alu instid0(VALU_DEP_1) | instskip(NEXT) | instid1(VALU_DEP_2)
	v_add_co_u32 v6, vcc_lo, v1, v6
	v_add_co_ci_u32_e32 v7, vcc_lo, v15, v7, vcc_lo
	global_load_u16 v3, v[6:7], off
	v_mul_u32_u24_e32 v6, 0x84, v8
	s_delay_alu instid0(VALU_DEP_1)
	v_add3_u32 v6, v12, s6, v6
	s_waitcnt vmcnt(0)
	ds_store_b16 v6, v3 offset:1056
.LBB17_49:
	s_or_b32 exec_lo, exec_lo, s3
	v_add_nc_u32_e32 v6, 16, v2
	s_mov_b32 s3, exec_lo
	s_delay_alu instid0(VALU_DEP_1) | instskip(NEXT) | instid1(VALU_DEP_1)
	v_ashrrev_i32_e32 v7, 31, v6
	v_cmpx_gt_i64_e64 s[10:11], v[6:7]
	s_cbranch_execz .LBB17_51
; %bb.50:
	v_mul_lo_u32 v3, v7, s16
	v_mul_lo_u32 v7, v6, s17
	v_mad_u64_u32 v[16:17], null, v6, s16, 0
	s_delay_alu instid0(VALU_DEP_1) | instskip(NEXT) | instid1(VALU_DEP_1)
	v_add3_u32 v17, v17, v7, v3
	v_lshlrev_b64 v[6:7], 1, v[16:17]
	s_delay_alu instid0(VALU_DEP_1) | instskip(NEXT) | instid1(VALU_DEP_2)
	v_add_co_u32 v6, vcc_lo, v1, v6
	v_add_co_ci_u32_e32 v7, vcc_lo, v15, v7, vcc_lo
	global_load_u16 v3, v[6:7], off
	v_mul_u32_u24_e32 v6, 0x84, v8
	s_delay_alu instid0(VALU_DEP_1)
	v_add3_u32 v6, v12, s6, v6
	s_waitcnt vmcnt(0)
	ds_store_b16 v6, v3 offset:2112
.LBB17_51:
	s_or_b32 exec_lo, exec_lo, s3
	v_add_nc_u32_e32 v6, 24, v2
	s_delay_alu instid0(VALU_DEP_1) | instskip(NEXT) | instid1(VALU_DEP_1)
	v_ashrrev_i32_e32 v7, 31, v6
	v_cmp_gt_i64_e32 vcc_lo, s[10:11], v[6:7]
	s_and_b32 exec_lo, exec_lo, vcc_lo
	s_cbranch_execz .LBB17_53
; %bb.52:
	v_mul_lo_u32 v3, v7, s16
	v_mul_lo_u32 v7, v6, s17
	v_mad_u64_u32 v[16:17], null, v6, s16, 0
	s_delay_alu instid0(VALU_DEP_1) | instskip(SKIP_1) | instid1(VALU_DEP_2)
	v_add3_u32 v17, v17, v7, v3
	v_mul_u32_u24_e32 v3, 0x84, v8
	v_lshlrev_b64 v[6:7], 1, v[16:17]
	s_delay_alu instid0(VALU_DEP_2) | instskip(NEXT) | instid1(VALU_DEP_2)
	v_add3_u32 v3, v12, s6, v3
	v_add_co_u32 v6, vcc_lo, v1, v6
	s_delay_alu instid0(VALU_DEP_3)
	v_add_co_ci_u32_e32 v7, vcc_lo, v15, v7, vcc_lo
	global_load_u16 v1, v[6:7], off
	s_waitcnt vmcnt(0)
	ds_store_b16 v3, v1 offset:3168
.LBB17_53:
	s_or_b32 exec_lo, exec_lo, s7
	v_ashrrev_i32_e32 v1, 31, v0
	v_mad_u32_u24 v6, 0x84, v9, s6
	s_lshl_b64 s[4:5], s[4:5], 1
	s_waitcnt lgkmcnt(0)
	s_waitcnt_vscnt null, 0x0
	v_add_co_u32 v3, s3, v10, s4
	v_cmp_gt_i64_e32 vcc_lo, s[16:17], v[0:1]
	v_add_co_ci_u32_e64 v15, s3, s5, v11, s3
	v_lshl_add_u32 v16, v8, 2, v6
	s_xor_b32 s3, s0, -1
	s_barrier
	s_and_b32 s5, vcc_lo, s3
	buffer_gl0_inv
	s_and_saveexec_b32 s4, s5
	s_cbranch_execz .LBB17_55
; %bb.54:
	v_mul_lo_u32 v1, v1, s10
	v_mul_lo_u32 v17, v0, s11
	v_mad_u64_u32 v[6:7], null, v0, s10, 0
	ds_load_u16 v18, v16
	v_add3_u32 v7, v7, v17, v1
	s_delay_alu instid0(VALU_DEP_1) | instskip(NEXT) | instid1(VALU_DEP_1)
	v_lshlrev_b64 v[6:7], 1, v[6:7]
	v_add_co_u32 v6, vcc_lo, v3, v6
	s_delay_alu instid0(VALU_DEP_2)
	v_add_co_ci_u32_e32 v7, vcc_lo, v15, v7, vcc_lo
	s_waitcnt lgkmcnt(0)
	global_store_b16 v[6:7], v18, off
.LBB17_55:
	s_or_b32 exec_lo, exec_lo, s4
	v_add_nc_u32_e32 v6, 8, v0
	s_delay_alu instid0(VALU_DEP_1) | instskip(NEXT) | instid1(VALU_DEP_1)
	v_ashrrev_i32_e32 v7, 31, v6
	v_cmp_gt_i64_e32 vcc_lo, s[16:17], v[6:7]
	s_and_b32 s5, vcc_lo, s3
	s_delay_alu instid0(SALU_CYCLE_1)
	s_and_saveexec_b32 s4, s5
	s_cbranch_execz .LBB17_57
; %bb.56:
	v_mul_lo_u32 v1, v7, s10
	v_mul_lo_u32 v7, v6, s11
	v_mad_u64_u32 v[17:18], null, v6, s10, 0
	ds_load_u16 v19, v16 offset:32
	v_add3_u32 v18, v18, v7, v1
	s_delay_alu instid0(VALU_DEP_1) | instskip(NEXT) | instid1(VALU_DEP_1)
	v_lshlrev_b64 v[6:7], 1, v[17:18]
	v_add_co_u32 v6, vcc_lo, v3, v6
	s_delay_alu instid0(VALU_DEP_2)
	v_add_co_ci_u32_e32 v7, vcc_lo, v15, v7, vcc_lo
	s_waitcnt lgkmcnt(0)
	global_store_b16 v[6:7], v19, off
.LBB17_57:
	s_or_b32 exec_lo, exec_lo, s4
	v_add_nc_u32_e32 v6, 16, v0
	s_delay_alu instid0(VALU_DEP_1) | instskip(NEXT) | instid1(VALU_DEP_1)
	v_ashrrev_i32_e32 v7, 31, v6
	v_cmp_gt_i64_e32 vcc_lo, s[16:17], v[6:7]
	s_and_b32 s5, vcc_lo, s3
	s_delay_alu instid0(SALU_CYCLE_1)
	s_and_saveexec_b32 s4, s5
	s_cbranch_execz .LBB17_59
; %bb.58:
	v_mul_lo_u32 v1, v7, s10
	v_mul_lo_u32 v7, v6, s11
	v_mad_u64_u32 v[17:18], null, v6, s10, 0
	ds_load_u16 v19, v16 offset:64
	v_add3_u32 v18, v18, v7, v1
	s_delay_alu instid0(VALU_DEP_1) | instskip(NEXT) | instid1(VALU_DEP_1)
	v_lshlrev_b64 v[6:7], 1, v[17:18]
	v_add_co_u32 v6, vcc_lo, v3, v6
	s_delay_alu instid0(VALU_DEP_2)
	v_add_co_ci_u32_e32 v7, vcc_lo, v15, v7, vcc_lo
	s_waitcnt lgkmcnt(0)
	global_store_b16 v[6:7], v19, off
.LBB17_59:
	;; [unrolled: 23-line block ×3, first 2 shown]
	s_or_b32 exec_lo, exec_lo, s3
	s_xor_b32 s9, s9, 1
.LBB17_62:
	s_delay_alu instid0(VALU_DEP_1)
	s_and_not1_b32 vcc_lo, exec_lo, s2
	s_cbranch_vccnz .LBB17_161
; %bb.63:
	s_or_b32 s4, s8, 3
	s_mov_b32 s5, 0
	s_delay_alu instid0(SALU_CYCLE_1)
	v_cmp_ge_u64_e32 vcc_lo, s[4:5], v[4:5]
	v_cmp_lt_u64_e64 s2, s[4:5], v[4:5]
	s_cbranch_vccnz .LBB17_82
; %bb.64:
	s_mul_i32 s3, s19, s4
	s_mul_hi_u32 s5, s18, s4
	s_mul_i32 s4, s18, s4
	s_add_i32 s5, s5, s3
	s_mul_i32 s6, s9, 0x1080
	s_and_saveexec_b32 s7, s1
	s_cbranch_execz .LBB17_73
; %bb.65:
	s_lshl_b64 s[12:13], s[4:5], 1
	v_ashrrev_i32_e32 v3, 31, v2
	v_add_co_u32 v1, s3, v13, s12
	s_delay_alu instid0(VALU_DEP_1) | instskip(SKIP_1) | instid1(VALU_DEP_3)
	v_add_co_ci_u32_e64 v15, s3, s13, v14, s3
	s_mov_b32 s3, exec_lo
	v_cmpx_gt_i64_e64 s[10:11], v[2:3]
	s_cbranch_execz .LBB17_67
; %bb.66:
	v_mul_lo_u32 v3, v3, s16
	v_mul_lo_u32 v16, v2, s17
	v_mad_u64_u32 v[6:7], null, v2, s16, 0
	s_delay_alu instid0(VALU_DEP_1) | instskip(NEXT) | instid1(VALU_DEP_1)
	v_add3_u32 v7, v7, v16, v3
	v_lshlrev_b64 v[6:7], 1, v[6:7]
	s_delay_alu instid0(VALU_DEP_1) | instskip(NEXT) | instid1(VALU_DEP_2)
	v_add_co_u32 v6, vcc_lo, v1, v6
	v_add_co_ci_u32_e32 v7, vcc_lo, v15, v7, vcc_lo
	global_load_u16 v3, v[6:7], off
	v_mul_u32_u24_e32 v6, 0x84, v8
	s_delay_alu instid0(VALU_DEP_1)
	v_add3_u32 v6, v12, s6, v6
	s_waitcnt vmcnt(0)
	ds_store_b16 v6, v3
.LBB17_67:
	s_or_b32 exec_lo, exec_lo, s3
	v_add_nc_u32_e32 v6, 8, v2
	s_mov_b32 s3, exec_lo
	s_delay_alu instid0(VALU_DEP_1) | instskip(NEXT) | instid1(VALU_DEP_1)
	v_ashrrev_i32_e32 v7, 31, v6
	v_cmpx_gt_i64_e64 s[10:11], v[6:7]
	s_cbranch_execz .LBB17_69
; %bb.68:
	v_mul_lo_u32 v3, v7, s16
	v_mul_lo_u32 v7, v6, s17
	v_mad_u64_u32 v[16:17], null, v6, s16, 0
	s_delay_alu instid0(VALU_DEP_1) | instskip(NEXT) | instid1(VALU_DEP_1)
	v_add3_u32 v17, v17, v7, v3
	v_lshlrev_b64 v[6:7], 1, v[16:17]
	s_delay_alu instid0(VALU_DEP_1) | instskip(NEXT) | instid1(VALU_DEP_2)
	v_add_co_u32 v6, vcc_lo, v1, v6
	v_add_co_ci_u32_e32 v7, vcc_lo, v15, v7, vcc_lo
	global_load_u16 v3, v[6:7], off
	v_mul_u32_u24_e32 v6, 0x84, v8
	s_delay_alu instid0(VALU_DEP_1)
	v_add3_u32 v6, v12, s6, v6
	s_waitcnt vmcnt(0)
	ds_store_b16 v6, v3 offset:1056
.LBB17_69:
	s_or_b32 exec_lo, exec_lo, s3
	v_add_nc_u32_e32 v6, 16, v2
	s_mov_b32 s3, exec_lo
	s_delay_alu instid0(VALU_DEP_1) | instskip(NEXT) | instid1(VALU_DEP_1)
	v_ashrrev_i32_e32 v7, 31, v6
	v_cmpx_gt_i64_e64 s[10:11], v[6:7]
	s_cbranch_execz .LBB17_71
; %bb.70:
	v_mul_lo_u32 v3, v7, s16
	v_mul_lo_u32 v7, v6, s17
	v_mad_u64_u32 v[16:17], null, v6, s16, 0
	s_delay_alu instid0(VALU_DEP_1) | instskip(NEXT) | instid1(VALU_DEP_1)
	v_add3_u32 v17, v17, v7, v3
	v_lshlrev_b64 v[6:7], 1, v[16:17]
	s_delay_alu instid0(VALU_DEP_1) | instskip(NEXT) | instid1(VALU_DEP_2)
	v_add_co_u32 v6, vcc_lo, v1, v6
	v_add_co_ci_u32_e32 v7, vcc_lo, v15, v7, vcc_lo
	global_load_u16 v3, v[6:7], off
	v_mul_u32_u24_e32 v6, 0x84, v8
	s_delay_alu instid0(VALU_DEP_1)
	v_add3_u32 v6, v12, s6, v6
	s_waitcnt vmcnt(0)
	ds_store_b16 v6, v3 offset:2112
.LBB17_71:
	s_or_b32 exec_lo, exec_lo, s3
	v_add_nc_u32_e32 v6, 24, v2
	s_delay_alu instid0(VALU_DEP_1) | instskip(NEXT) | instid1(VALU_DEP_1)
	v_ashrrev_i32_e32 v7, 31, v6
	v_cmp_gt_i64_e32 vcc_lo, s[10:11], v[6:7]
	s_and_b32 exec_lo, exec_lo, vcc_lo
	s_cbranch_execz .LBB17_73
; %bb.72:
	v_mul_lo_u32 v3, v7, s16
	v_mul_lo_u32 v7, v6, s17
	v_mad_u64_u32 v[16:17], null, v6, s16, 0
	s_delay_alu instid0(VALU_DEP_1) | instskip(SKIP_1) | instid1(VALU_DEP_2)
	v_add3_u32 v17, v17, v7, v3
	v_mul_u32_u24_e32 v3, 0x84, v8
	v_lshlrev_b64 v[6:7], 1, v[16:17]
	s_delay_alu instid0(VALU_DEP_2) | instskip(NEXT) | instid1(VALU_DEP_2)
	v_add3_u32 v3, v12, s6, v3
	v_add_co_u32 v6, vcc_lo, v1, v6
	s_delay_alu instid0(VALU_DEP_3)
	v_add_co_ci_u32_e32 v7, vcc_lo, v15, v7, vcc_lo
	global_load_u16 v1, v[6:7], off
	s_waitcnt vmcnt(0)
	ds_store_b16 v3, v1 offset:3168
.LBB17_73:
	s_or_b32 exec_lo, exec_lo, s7
	v_ashrrev_i32_e32 v1, 31, v0
	v_mad_u32_u24 v6, 0x84, v9, s6
	s_lshl_b64 s[4:5], s[4:5], 1
	s_waitcnt lgkmcnt(0)
	s_waitcnt_vscnt null, 0x0
	v_add_co_u32 v3, s3, v10, s4
	v_cmp_gt_i64_e32 vcc_lo, s[16:17], v[0:1]
	v_add_co_ci_u32_e64 v15, s3, s5, v11, s3
	v_lshl_add_u32 v16, v8, 2, v6
	s_xor_b32 s3, s0, -1
	s_barrier
	s_and_b32 s5, vcc_lo, s3
	buffer_gl0_inv
	s_and_saveexec_b32 s4, s5
	s_cbranch_execz .LBB17_75
; %bb.74:
	v_mul_lo_u32 v1, v1, s10
	v_mul_lo_u32 v17, v0, s11
	v_mad_u64_u32 v[6:7], null, v0, s10, 0
	ds_load_u16 v18, v16
	v_add3_u32 v7, v7, v17, v1
	s_delay_alu instid0(VALU_DEP_1) | instskip(NEXT) | instid1(VALU_DEP_1)
	v_lshlrev_b64 v[6:7], 1, v[6:7]
	v_add_co_u32 v6, vcc_lo, v3, v6
	s_delay_alu instid0(VALU_DEP_2)
	v_add_co_ci_u32_e32 v7, vcc_lo, v15, v7, vcc_lo
	s_waitcnt lgkmcnt(0)
	global_store_b16 v[6:7], v18, off
.LBB17_75:
	s_or_b32 exec_lo, exec_lo, s4
	v_add_nc_u32_e32 v6, 8, v0
	s_delay_alu instid0(VALU_DEP_1) | instskip(NEXT) | instid1(VALU_DEP_1)
	v_ashrrev_i32_e32 v7, 31, v6
	v_cmp_gt_i64_e32 vcc_lo, s[16:17], v[6:7]
	s_and_b32 s5, vcc_lo, s3
	s_delay_alu instid0(SALU_CYCLE_1)
	s_and_saveexec_b32 s4, s5
	s_cbranch_execz .LBB17_77
; %bb.76:
	v_mul_lo_u32 v1, v7, s10
	v_mul_lo_u32 v7, v6, s11
	v_mad_u64_u32 v[17:18], null, v6, s10, 0
	ds_load_u16 v19, v16 offset:32
	v_add3_u32 v18, v18, v7, v1
	s_delay_alu instid0(VALU_DEP_1) | instskip(NEXT) | instid1(VALU_DEP_1)
	v_lshlrev_b64 v[6:7], 1, v[17:18]
	v_add_co_u32 v6, vcc_lo, v3, v6
	s_delay_alu instid0(VALU_DEP_2)
	v_add_co_ci_u32_e32 v7, vcc_lo, v15, v7, vcc_lo
	s_waitcnt lgkmcnt(0)
	global_store_b16 v[6:7], v19, off
.LBB17_77:
	s_or_b32 exec_lo, exec_lo, s4
	v_add_nc_u32_e32 v6, 16, v0
	s_delay_alu instid0(VALU_DEP_1) | instskip(NEXT) | instid1(VALU_DEP_1)
	v_ashrrev_i32_e32 v7, 31, v6
	v_cmp_gt_i64_e32 vcc_lo, s[16:17], v[6:7]
	s_and_b32 s5, vcc_lo, s3
	s_delay_alu instid0(SALU_CYCLE_1)
	s_and_saveexec_b32 s4, s5
	s_cbranch_execz .LBB17_79
; %bb.78:
	v_mul_lo_u32 v1, v7, s10
	v_mul_lo_u32 v7, v6, s11
	v_mad_u64_u32 v[17:18], null, v6, s10, 0
	ds_load_u16 v19, v16 offset:64
	v_add3_u32 v18, v18, v7, v1
	s_delay_alu instid0(VALU_DEP_1) | instskip(NEXT) | instid1(VALU_DEP_1)
	v_lshlrev_b64 v[6:7], 1, v[17:18]
	v_add_co_u32 v6, vcc_lo, v3, v6
	s_delay_alu instid0(VALU_DEP_2)
	v_add_co_ci_u32_e32 v7, vcc_lo, v15, v7, vcc_lo
	s_waitcnt lgkmcnt(0)
	global_store_b16 v[6:7], v19, off
.LBB17_79:
	;; [unrolled: 23-line block ×3, first 2 shown]
	s_or_b32 exec_lo, exec_lo, s3
	s_xor_b32 s9, s9, 1
.LBB17_82:
	s_delay_alu instid0(VALU_DEP_1)
	s_and_not1_b32 vcc_lo, exec_lo, s2
	s_cbranch_vccnz .LBB17_161
; %bb.83:
	s_or_b32 s4, s8, 4
	s_mov_b32 s5, 0
	s_delay_alu instid0(SALU_CYCLE_1)
	v_cmp_ge_u64_e32 vcc_lo, s[4:5], v[4:5]
	v_cmp_lt_u64_e64 s2, s[4:5], v[4:5]
	s_cbranch_vccnz .LBB17_102
; %bb.84:
	s_mul_i32 s3, s19, s4
	s_mul_hi_u32 s5, s18, s4
	s_mul_i32 s4, s18, s4
	s_add_i32 s5, s5, s3
	s_mul_i32 s6, s9, 0x1080
	s_and_saveexec_b32 s7, s1
	s_cbranch_execz .LBB17_93
; %bb.85:
	s_lshl_b64 s[12:13], s[4:5], 1
	v_ashrrev_i32_e32 v3, 31, v2
	v_add_co_u32 v1, s3, v13, s12
	s_delay_alu instid0(VALU_DEP_1) | instskip(SKIP_1) | instid1(VALU_DEP_3)
	v_add_co_ci_u32_e64 v15, s3, s13, v14, s3
	s_mov_b32 s3, exec_lo
	v_cmpx_gt_i64_e64 s[10:11], v[2:3]
	s_cbranch_execz .LBB17_87
; %bb.86:
	v_mul_lo_u32 v3, v3, s16
	v_mul_lo_u32 v16, v2, s17
	v_mad_u64_u32 v[6:7], null, v2, s16, 0
	s_delay_alu instid0(VALU_DEP_1) | instskip(NEXT) | instid1(VALU_DEP_1)
	v_add3_u32 v7, v7, v16, v3
	v_lshlrev_b64 v[6:7], 1, v[6:7]
	s_delay_alu instid0(VALU_DEP_1) | instskip(NEXT) | instid1(VALU_DEP_2)
	v_add_co_u32 v6, vcc_lo, v1, v6
	v_add_co_ci_u32_e32 v7, vcc_lo, v15, v7, vcc_lo
	global_load_u16 v3, v[6:7], off
	v_mul_u32_u24_e32 v6, 0x84, v8
	s_delay_alu instid0(VALU_DEP_1)
	v_add3_u32 v6, v12, s6, v6
	s_waitcnt vmcnt(0)
	ds_store_b16 v6, v3
.LBB17_87:
	s_or_b32 exec_lo, exec_lo, s3
	v_add_nc_u32_e32 v6, 8, v2
	s_mov_b32 s3, exec_lo
	s_delay_alu instid0(VALU_DEP_1) | instskip(NEXT) | instid1(VALU_DEP_1)
	v_ashrrev_i32_e32 v7, 31, v6
	v_cmpx_gt_i64_e64 s[10:11], v[6:7]
	s_cbranch_execz .LBB17_89
; %bb.88:
	v_mul_lo_u32 v3, v7, s16
	v_mul_lo_u32 v7, v6, s17
	v_mad_u64_u32 v[16:17], null, v6, s16, 0
	s_delay_alu instid0(VALU_DEP_1) | instskip(NEXT) | instid1(VALU_DEP_1)
	v_add3_u32 v17, v17, v7, v3
	v_lshlrev_b64 v[6:7], 1, v[16:17]
	s_delay_alu instid0(VALU_DEP_1) | instskip(NEXT) | instid1(VALU_DEP_2)
	v_add_co_u32 v6, vcc_lo, v1, v6
	v_add_co_ci_u32_e32 v7, vcc_lo, v15, v7, vcc_lo
	global_load_u16 v3, v[6:7], off
	v_mul_u32_u24_e32 v6, 0x84, v8
	s_delay_alu instid0(VALU_DEP_1)
	v_add3_u32 v6, v12, s6, v6
	s_waitcnt vmcnt(0)
	ds_store_b16 v6, v3 offset:1056
.LBB17_89:
	s_or_b32 exec_lo, exec_lo, s3
	v_add_nc_u32_e32 v6, 16, v2
	s_mov_b32 s3, exec_lo
	s_delay_alu instid0(VALU_DEP_1) | instskip(NEXT) | instid1(VALU_DEP_1)
	v_ashrrev_i32_e32 v7, 31, v6
	v_cmpx_gt_i64_e64 s[10:11], v[6:7]
	s_cbranch_execz .LBB17_91
; %bb.90:
	v_mul_lo_u32 v3, v7, s16
	v_mul_lo_u32 v7, v6, s17
	v_mad_u64_u32 v[16:17], null, v6, s16, 0
	s_delay_alu instid0(VALU_DEP_1) | instskip(NEXT) | instid1(VALU_DEP_1)
	v_add3_u32 v17, v17, v7, v3
	v_lshlrev_b64 v[6:7], 1, v[16:17]
	s_delay_alu instid0(VALU_DEP_1) | instskip(NEXT) | instid1(VALU_DEP_2)
	v_add_co_u32 v6, vcc_lo, v1, v6
	v_add_co_ci_u32_e32 v7, vcc_lo, v15, v7, vcc_lo
	global_load_u16 v3, v[6:7], off
	v_mul_u32_u24_e32 v6, 0x84, v8
	s_delay_alu instid0(VALU_DEP_1)
	v_add3_u32 v6, v12, s6, v6
	s_waitcnt vmcnt(0)
	ds_store_b16 v6, v3 offset:2112
.LBB17_91:
	s_or_b32 exec_lo, exec_lo, s3
	v_add_nc_u32_e32 v6, 24, v2
	s_delay_alu instid0(VALU_DEP_1) | instskip(NEXT) | instid1(VALU_DEP_1)
	v_ashrrev_i32_e32 v7, 31, v6
	v_cmp_gt_i64_e32 vcc_lo, s[10:11], v[6:7]
	s_and_b32 exec_lo, exec_lo, vcc_lo
	s_cbranch_execz .LBB17_93
; %bb.92:
	v_mul_lo_u32 v3, v7, s16
	v_mul_lo_u32 v7, v6, s17
	v_mad_u64_u32 v[16:17], null, v6, s16, 0
	s_delay_alu instid0(VALU_DEP_1) | instskip(SKIP_1) | instid1(VALU_DEP_2)
	v_add3_u32 v17, v17, v7, v3
	v_mul_u32_u24_e32 v3, 0x84, v8
	v_lshlrev_b64 v[6:7], 1, v[16:17]
	s_delay_alu instid0(VALU_DEP_2) | instskip(NEXT) | instid1(VALU_DEP_2)
	v_add3_u32 v3, v12, s6, v3
	v_add_co_u32 v6, vcc_lo, v1, v6
	s_delay_alu instid0(VALU_DEP_3)
	v_add_co_ci_u32_e32 v7, vcc_lo, v15, v7, vcc_lo
	global_load_u16 v1, v[6:7], off
	s_waitcnt vmcnt(0)
	ds_store_b16 v3, v1 offset:3168
.LBB17_93:
	s_or_b32 exec_lo, exec_lo, s7
	v_ashrrev_i32_e32 v1, 31, v0
	v_mad_u32_u24 v6, 0x84, v9, s6
	s_lshl_b64 s[4:5], s[4:5], 1
	s_waitcnt lgkmcnt(0)
	s_waitcnt_vscnt null, 0x0
	v_add_co_u32 v3, s3, v10, s4
	v_cmp_gt_i64_e32 vcc_lo, s[16:17], v[0:1]
	v_add_co_ci_u32_e64 v15, s3, s5, v11, s3
	v_lshl_add_u32 v16, v8, 2, v6
	s_xor_b32 s3, s0, -1
	s_barrier
	s_and_b32 s5, vcc_lo, s3
	buffer_gl0_inv
	s_and_saveexec_b32 s4, s5
	s_cbranch_execz .LBB17_95
; %bb.94:
	v_mul_lo_u32 v1, v1, s10
	v_mul_lo_u32 v17, v0, s11
	v_mad_u64_u32 v[6:7], null, v0, s10, 0
	ds_load_u16 v18, v16
	v_add3_u32 v7, v7, v17, v1
	s_delay_alu instid0(VALU_DEP_1) | instskip(NEXT) | instid1(VALU_DEP_1)
	v_lshlrev_b64 v[6:7], 1, v[6:7]
	v_add_co_u32 v6, vcc_lo, v3, v6
	s_delay_alu instid0(VALU_DEP_2)
	v_add_co_ci_u32_e32 v7, vcc_lo, v15, v7, vcc_lo
	s_waitcnt lgkmcnt(0)
	global_store_b16 v[6:7], v18, off
.LBB17_95:
	s_or_b32 exec_lo, exec_lo, s4
	v_add_nc_u32_e32 v6, 8, v0
	s_delay_alu instid0(VALU_DEP_1) | instskip(NEXT) | instid1(VALU_DEP_1)
	v_ashrrev_i32_e32 v7, 31, v6
	v_cmp_gt_i64_e32 vcc_lo, s[16:17], v[6:7]
	s_and_b32 s5, vcc_lo, s3
	s_delay_alu instid0(SALU_CYCLE_1)
	s_and_saveexec_b32 s4, s5
	s_cbranch_execz .LBB17_97
; %bb.96:
	v_mul_lo_u32 v1, v7, s10
	v_mul_lo_u32 v7, v6, s11
	v_mad_u64_u32 v[17:18], null, v6, s10, 0
	ds_load_u16 v19, v16 offset:32
	v_add3_u32 v18, v18, v7, v1
	s_delay_alu instid0(VALU_DEP_1) | instskip(NEXT) | instid1(VALU_DEP_1)
	v_lshlrev_b64 v[6:7], 1, v[17:18]
	v_add_co_u32 v6, vcc_lo, v3, v6
	s_delay_alu instid0(VALU_DEP_2)
	v_add_co_ci_u32_e32 v7, vcc_lo, v15, v7, vcc_lo
	s_waitcnt lgkmcnt(0)
	global_store_b16 v[6:7], v19, off
.LBB17_97:
	s_or_b32 exec_lo, exec_lo, s4
	v_add_nc_u32_e32 v6, 16, v0
	s_delay_alu instid0(VALU_DEP_1) | instskip(NEXT) | instid1(VALU_DEP_1)
	v_ashrrev_i32_e32 v7, 31, v6
	v_cmp_gt_i64_e32 vcc_lo, s[16:17], v[6:7]
	s_and_b32 s5, vcc_lo, s3
	s_delay_alu instid0(SALU_CYCLE_1)
	s_and_saveexec_b32 s4, s5
	s_cbranch_execz .LBB17_99
; %bb.98:
	v_mul_lo_u32 v1, v7, s10
	v_mul_lo_u32 v7, v6, s11
	v_mad_u64_u32 v[17:18], null, v6, s10, 0
	ds_load_u16 v19, v16 offset:64
	v_add3_u32 v18, v18, v7, v1
	s_delay_alu instid0(VALU_DEP_1) | instskip(NEXT) | instid1(VALU_DEP_1)
	v_lshlrev_b64 v[6:7], 1, v[17:18]
	v_add_co_u32 v6, vcc_lo, v3, v6
	s_delay_alu instid0(VALU_DEP_2)
	v_add_co_ci_u32_e32 v7, vcc_lo, v15, v7, vcc_lo
	s_waitcnt lgkmcnt(0)
	global_store_b16 v[6:7], v19, off
.LBB17_99:
	;; [unrolled: 23-line block ×3, first 2 shown]
	s_or_b32 exec_lo, exec_lo, s3
	s_xor_b32 s9, s9, 1
.LBB17_102:
	s_delay_alu instid0(VALU_DEP_1)
	s_and_not1_b32 vcc_lo, exec_lo, s2
	s_cbranch_vccnz .LBB17_161
; %bb.103:
	s_or_b32 s4, s8, 5
	s_mov_b32 s5, 0
	s_delay_alu instid0(SALU_CYCLE_1)
	v_cmp_ge_u64_e32 vcc_lo, s[4:5], v[4:5]
	v_cmp_lt_u64_e64 s2, s[4:5], v[4:5]
	s_cbranch_vccnz .LBB17_122
; %bb.104:
	s_mul_i32 s3, s19, s4
	s_mul_hi_u32 s5, s18, s4
	s_mul_i32 s4, s18, s4
	s_add_i32 s5, s5, s3
	s_mul_i32 s6, s9, 0x1080
	s_and_saveexec_b32 s7, s1
	s_cbranch_execz .LBB17_113
; %bb.105:
	s_lshl_b64 s[12:13], s[4:5], 1
	v_ashrrev_i32_e32 v3, 31, v2
	v_add_co_u32 v1, s3, v13, s12
	s_delay_alu instid0(VALU_DEP_1) | instskip(SKIP_1) | instid1(VALU_DEP_3)
	v_add_co_ci_u32_e64 v15, s3, s13, v14, s3
	s_mov_b32 s3, exec_lo
	v_cmpx_gt_i64_e64 s[10:11], v[2:3]
	s_cbranch_execz .LBB17_107
; %bb.106:
	v_mul_lo_u32 v3, v3, s16
	v_mul_lo_u32 v16, v2, s17
	v_mad_u64_u32 v[6:7], null, v2, s16, 0
	s_delay_alu instid0(VALU_DEP_1) | instskip(NEXT) | instid1(VALU_DEP_1)
	v_add3_u32 v7, v7, v16, v3
	v_lshlrev_b64 v[6:7], 1, v[6:7]
	s_delay_alu instid0(VALU_DEP_1) | instskip(NEXT) | instid1(VALU_DEP_2)
	v_add_co_u32 v6, vcc_lo, v1, v6
	v_add_co_ci_u32_e32 v7, vcc_lo, v15, v7, vcc_lo
	global_load_u16 v3, v[6:7], off
	v_mul_u32_u24_e32 v6, 0x84, v8
	s_delay_alu instid0(VALU_DEP_1)
	v_add3_u32 v6, v12, s6, v6
	s_waitcnt vmcnt(0)
	ds_store_b16 v6, v3
.LBB17_107:
	s_or_b32 exec_lo, exec_lo, s3
	v_add_nc_u32_e32 v6, 8, v2
	s_mov_b32 s3, exec_lo
	s_delay_alu instid0(VALU_DEP_1) | instskip(NEXT) | instid1(VALU_DEP_1)
	v_ashrrev_i32_e32 v7, 31, v6
	v_cmpx_gt_i64_e64 s[10:11], v[6:7]
	s_cbranch_execz .LBB17_109
; %bb.108:
	v_mul_lo_u32 v3, v7, s16
	v_mul_lo_u32 v7, v6, s17
	v_mad_u64_u32 v[16:17], null, v6, s16, 0
	s_delay_alu instid0(VALU_DEP_1) | instskip(NEXT) | instid1(VALU_DEP_1)
	v_add3_u32 v17, v17, v7, v3
	v_lshlrev_b64 v[6:7], 1, v[16:17]
	s_delay_alu instid0(VALU_DEP_1) | instskip(NEXT) | instid1(VALU_DEP_2)
	v_add_co_u32 v6, vcc_lo, v1, v6
	v_add_co_ci_u32_e32 v7, vcc_lo, v15, v7, vcc_lo
	global_load_u16 v3, v[6:7], off
	v_mul_u32_u24_e32 v6, 0x84, v8
	s_delay_alu instid0(VALU_DEP_1)
	v_add3_u32 v6, v12, s6, v6
	s_waitcnt vmcnt(0)
	ds_store_b16 v6, v3 offset:1056
.LBB17_109:
	s_or_b32 exec_lo, exec_lo, s3
	v_add_nc_u32_e32 v6, 16, v2
	s_mov_b32 s3, exec_lo
	s_delay_alu instid0(VALU_DEP_1) | instskip(NEXT) | instid1(VALU_DEP_1)
	v_ashrrev_i32_e32 v7, 31, v6
	v_cmpx_gt_i64_e64 s[10:11], v[6:7]
	s_cbranch_execz .LBB17_111
; %bb.110:
	v_mul_lo_u32 v3, v7, s16
	v_mul_lo_u32 v7, v6, s17
	v_mad_u64_u32 v[16:17], null, v6, s16, 0
	s_delay_alu instid0(VALU_DEP_1) | instskip(NEXT) | instid1(VALU_DEP_1)
	v_add3_u32 v17, v17, v7, v3
	v_lshlrev_b64 v[6:7], 1, v[16:17]
	s_delay_alu instid0(VALU_DEP_1) | instskip(NEXT) | instid1(VALU_DEP_2)
	v_add_co_u32 v6, vcc_lo, v1, v6
	v_add_co_ci_u32_e32 v7, vcc_lo, v15, v7, vcc_lo
	global_load_u16 v3, v[6:7], off
	v_mul_u32_u24_e32 v6, 0x84, v8
	s_delay_alu instid0(VALU_DEP_1)
	v_add3_u32 v6, v12, s6, v6
	s_waitcnt vmcnt(0)
	ds_store_b16 v6, v3 offset:2112
.LBB17_111:
	s_or_b32 exec_lo, exec_lo, s3
	v_add_nc_u32_e32 v6, 24, v2
	s_delay_alu instid0(VALU_DEP_1) | instskip(NEXT) | instid1(VALU_DEP_1)
	v_ashrrev_i32_e32 v7, 31, v6
	v_cmp_gt_i64_e32 vcc_lo, s[10:11], v[6:7]
	s_and_b32 exec_lo, exec_lo, vcc_lo
	s_cbranch_execz .LBB17_113
; %bb.112:
	v_mul_lo_u32 v3, v7, s16
	v_mul_lo_u32 v7, v6, s17
	v_mad_u64_u32 v[16:17], null, v6, s16, 0
	s_delay_alu instid0(VALU_DEP_1) | instskip(SKIP_1) | instid1(VALU_DEP_2)
	v_add3_u32 v17, v17, v7, v3
	v_mul_u32_u24_e32 v3, 0x84, v8
	v_lshlrev_b64 v[6:7], 1, v[16:17]
	s_delay_alu instid0(VALU_DEP_2) | instskip(NEXT) | instid1(VALU_DEP_2)
	v_add3_u32 v3, v12, s6, v3
	v_add_co_u32 v6, vcc_lo, v1, v6
	s_delay_alu instid0(VALU_DEP_3)
	v_add_co_ci_u32_e32 v7, vcc_lo, v15, v7, vcc_lo
	global_load_u16 v1, v[6:7], off
	s_waitcnt vmcnt(0)
	ds_store_b16 v3, v1 offset:3168
.LBB17_113:
	s_or_b32 exec_lo, exec_lo, s7
	v_ashrrev_i32_e32 v1, 31, v0
	v_mad_u32_u24 v6, 0x84, v9, s6
	s_lshl_b64 s[4:5], s[4:5], 1
	s_waitcnt lgkmcnt(0)
	s_waitcnt_vscnt null, 0x0
	v_add_co_u32 v3, s3, v10, s4
	v_cmp_gt_i64_e32 vcc_lo, s[16:17], v[0:1]
	v_add_co_ci_u32_e64 v15, s3, s5, v11, s3
	v_lshl_add_u32 v16, v8, 2, v6
	s_xor_b32 s3, s0, -1
	s_barrier
	s_and_b32 s5, vcc_lo, s3
	buffer_gl0_inv
	s_and_saveexec_b32 s4, s5
	s_cbranch_execz .LBB17_115
; %bb.114:
	v_mul_lo_u32 v1, v1, s10
	v_mul_lo_u32 v17, v0, s11
	v_mad_u64_u32 v[6:7], null, v0, s10, 0
	ds_load_u16 v18, v16
	v_add3_u32 v7, v7, v17, v1
	s_delay_alu instid0(VALU_DEP_1) | instskip(NEXT) | instid1(VALU_DEP_1)
	v_lshlrev_b64 v[6:7], 1, v[6:7]
	v_add_co_u32 v6, vcc_lo, v3, v6
	s_delay_alu instid0(VALU_DEP_2)
	v_add_co_ci_u32_e32 v7, vcc_lo, v15, v7, vcc_lo
	s_waitcnt lgkmcnt(0)
	global_store_b16 v[6:7], v18, off
.LBB17_115:
	s_or_b32 exec_lo, exec_lo, s4
	v_add_nc_u32_e32 v6, 8, v0
	s_delay_alu instid0(VALU_DEP_1) | instskip(NEXT) | instid1(VALU_DEP_1)
	v_ashrrev_i32_e32 v7, 31, v6
	v_cmp_gt_i64_e32 vcc_lo, s[16:17], v[6:7]
	s_and_b32 s5, vcc_lo, s3
	s_delay_alu instid0(SALU_CYCLE_1)
	s_and_saveexec_b32 s4, s5
	s_cbranch_execz .LBB17_117
; %bb.116:
	v_mul_lo_u32 v1, v7, s10
	v_mul_lo_u32 v7, v6, s11
	v_mad_u64_u32 v[17:18], null, v6, s10, 0
	ds_load_u16 v19, v16 offset:32
	v_add3_u32 v18, v18, v7, v1
	s_delay_alu instid0(VALU_DEP_1) | instskip(NEXT) | instid1(VALU_DEP_1)
	v_lshlrev_b64 v[6:7], 1, v[17:18]
	v_add_co_u32 v6, vcc_lo, v3, v6
	s_delay_alu instid0(VALU_DEP_2)
	v_add_co_ci_u32_e32 v7, vcc_lo, v15, v7, vcc_lo
	s_waitcnt lgkmcnt(0)
	global_store_b16 v[6:7], v19, off
.LBB17_117:
	s_or_b32 exec_lo, exec_lo, s4
	v_add_nc_u32_e32 v6, 16, v0
	s_delay_alu instid0(VALU_DEP_1) | instskip(NEXT) | instid1(VALU_DEP_1)
	v_ashrrev_i32_e32 v7, 31, v6
	v_cmp_gt_i64_e32 vcc_lo, s[16:17], v[6:7]
	s_and_b32 s5, vcc_lo, s3
	s_delay_alu instid0(SALU_CYCLE_1)
	s_and_saveexec_b32 s4, s5
	s_cbranch_execz .LBB17_119
; %bb.118:
	v_mul_lo_u32 v1, v7, s10
	v_mul_lo_u32 v7, v6, s11
	v_mad_u64_u32 v[17:18], null, v6, s10, 0
	ds_load_u16 v19, v16 offset:64
	v_add3_u32 v18, v18, v7, v1
	s_delay_alu instid0(VALU_DEP_1) | instskip(NEXT) | instid1(VALU_DEP_1)
	v_lshlrev_b64 v[6:7], 1, v[17:18]
	v_add_co_u32 v6, vcc_lo, v3, v6
	s_delay_alu instid0(VALU_DEP_2)
	v_add_co_ci_u32_e32 v7, vcc_lo, v15, v7, vcc_lo
	s_waitcnt lgkmcnt(0)
	global_store_b16 v[6:7], v19, off
.LBB17_119:
	;; [unrolled: 23-line block ×3, first 2 shown]
	s_or_b32 exec_lo, exec_lo, s3
	s_xor_b32 s9, s9, 1
.LBB17_122:
	s_delay_alu instid0(VALU_DEP_1)
	s_and_not1_b32 vcc_lo, exec_lo, s2
	s_cbranch_vccnz .LBB17_161
; %bb.123:
	s_or_b32 s4, s8, 6
	s_mov_b32 s5, 0
	s_delay_alu instid0(SALU_CYCLE_1)
	v_cmp_ge_u64_e32 vcc_lo, s[4:5], v[4:5]
	v_cmp_lt_u64_e64 s2, s[4:5], v[4:5]
	s_cbranch_vccnz .LBB17_142
; %bb.124:
	s_mul_i32 s3, s19, s4
	s_mul_hi_u32 s5, s18, s4
	s_mul_i32 s4, s18, s4
	s_add_i32 s5, s5, s3
	s_mul_i32 s6, s9, 0x1080
	s_and_saveexec_b32 s7, s1
	s_cbranch_execz .LBB17_133
; %bb.125:
	s_lshl_b64 s[12:13], s[4:5], 1
	v_ashrrev_i32_e32 v3, 31, v2
	v_add_co_u32 v1, s3, v13, s12
	s_delay_alu instid0(VALU_DEP_1) | instskip(SKIP_1) | instid1(VALU_DEP_3)
	v_add_co_ci_u32_e64 v15, s3, s13, v14, s3
	s_mov_b32 s3, exec_lo
	v_cmpx_gt_i64_e64 s[10:11], v[2:3]
	s_cbranch_execz .LBB17_127
; %bb.126:
	v_mul_lo_u32 v3, v3, s16
	v_mul_lo_u32 v16, v2, s17
	v_mad_u64_u32 v[6:7], null, v2, s16, 0
	s_delay_alu instid0(VALU_DEP_1) | instskip(NEXT) | instid1(VALU_DEP_1)
	v_add3_u32 v7, v7, v16, v3
	v_lshlrev_b64 v[6:7], 1, v[6:7]
	s_delay_alu instid0(VALU_DEP_1) | instskip(NEXT) | instid1(VALU_DEP_2)
	v_add_co_u32 v6, vcc_lo, v1, v6
	v_add_co_ci_u32_e32 v7, vcc_lo, v15, v7, vcc_lo
	global_load_u16 v3, v[6:7], off
	v_mul_u32_u24_e32 v6, 0x84, v8
	s_delay_alu instid0(VALU_DEP_1)
	v_add3_u32 v6, v12, s6, v6
	s_waitcnt vmcnt(0)
	ds_store_b16 v6, v3
.LBB17_127:
	s_or_b32 exec_lo, exec_lo, s3
	v_add_nc_u32_e32 v6, 8, v2
	s_mov_b32 s3, exec_lo
	s_delay_alu instid0(VALU_DEP_1) | instskip(NEXT) | instid1(VALU_DEP_1)
	v_ashrrev_i32_e32 v7, 31, v6
	v_cmpx_gt_i64_e64 s[10:11], v[6:7]
	s_cbranch_execz .LBB17_129
; %bb.128:
	v_mul_lo_u32 v3, v7, s16
	v_mul_lo_u32 v7, v6, s17
	v_mad_u64_u32 v[16:17], null, v6, s16, 0
	s_delay_alu instid0(VALU_DEP_1) | instskip(NEXT) | instid1(VALU_DEP_1)
	v_add3_u32 v17, v17, v7, v3
	v_lshlrev_b64 v[6:7], 1, v[16:17]
	s_delay_alu instid0(VALU_DEP_1) | instskip(NEXT) | instid1(VALU_DEP_2)
	v_add_co_u32 v6, vcc_lo, v1, v6
	v_add_co_ci_u32_e32 v7, vcc_lo, v15, v7, vcc_lo
	global_load_u16 v3, v[6:7], off
	v_mul_u32_u24_e32 v6, 0x84, v8
	s_delay_alu instid0(VALU_DEP_1)
	v_add3_u32 v6, v12, s6, v6
	s_waitcnt vmcnt(0)
	ds_store_b16 v6, v3 offset:1056
.LBB17_129:
	s_or_b32 exec_lo, exec_lo, s3
	v_add_nc_u32_e32 v6, 16, v2
	s_mov_b32 s3, exec_lo
	s_delay_alu instid0(VALU_DEP_1) | instskip(NEXT) | instid1(VALU_DEP_1)
	v_ashrrev_i32_e32 v7, 31, v6
	v_cmpx_gt_i64_e64 s[10:11], v[6:7]
	s_cbranch_execz .LBB17_131
; %bb.130:
	v_mul_lo_u32 v3, v7, s16
	v_mul_lo_u32 v7, v6, s17
	v_mad_u64_u32 v[16:17], null, v6, s16, 0
	s_delay_alu instid0(VALU_DEP_1) | instskip(NEXT) | instid1(VALU_DEP_1)
	v_add3_u32 v17, v17, v7, v3
	v_lshlrev_b64 v[6:7], 1, v[16:17]
	s_delay_alu instid0(VALU_DEP_1) | instskip(NEXT) | instid1(VALU_DEP_2)
	v_add_co_u32 v6, vcc_lo, v1, v6
	v_add_co_ci_u32_e32 v7, vcc_lo, v15, v7, vcc_lo
	global_load_u16 v3, v[6:7], off
	v_mul_u32_u24_e32 v6, 0x84, v8
	s_delay_alu instid0(VALU_DEP_1)
	v_add3_u32 v6, v12, s6, v6
	s_waitcnt vmcnt(0)
	ds_store_b16 v6, v3 offset:2112
.LBB17_131:
	s_or_b32 exec_lo, exec_lo, s3
	v_add_nc_u32_e32 v6, 24, v2
	s_delay_alu instid0(VALU_DEP_1) | instskip(NEXT) | instid1(VALU_DEP_1)
	v_ashrrev_i32_e32 v7, 31, v6
	v_cmp_gt_i64_e32 vcc_lo, s[10:11], v[6:7]
	s_and_b32 exec_lo, exec_lo, vcc_lo
	s_cbranch_execz .LBB17_133
; %bb.132:
	v_mul_lo_u32 v3, v7, s16
	v_mul_lo_u32 v7, v6, s17
	v_mad_u64_u32 v[16:17], null, v6, s16, 0
	s_delay_alu instid0(VALU_DEP_1) | instskip(SKIP_1) | instid1(VALU_DEP_2)
	v_add3_u32 v17, v17, v7, v3
	v_mul_u32_u24_e32 v3, 0x84, v8
	v_lshlrev_b64 v[6:7], 1, v[16:17]
	s_delay_alu instid0(VALU_DEP_2) | instskip(NEXT) | instid1(VALU_DEP_2)
	v_add3_u32 v3, v12, s6, v3
	v_add_co_u32 v6, vcc_lo, v1, v6
	s_delay_alu instid0(VALU_DEP_3)
	v_add_co_ci_u32_e32 v7, vcc_lo, v15, v7, vcc_lo
	global_load_u16 v1, v[6:7], off
	s_waitcnt vmcnt(0)
	ds_store_b16 v3, v1 offset:3168
.LBB17_133:
	s_or_b32 exec_lo, exec_lo, s7
	v_ashrrev_i32_e32 v1, 31, v0
	v_mad_u32_u24 v6, 0x84, v9, s6
	s_lshl_b64 s[4:5], s[4:5], 1
	s_waitcnt lgkmcnt(0)
	s_waitcnt_vscnt null, 0x0
	v_add_co_u32 v3, s3, v10, s4
	v_cmp_gt_i64_e32 vcc_lo, s[16:17], v[0:1]
	v_add_co_ci_u32_e64 v15, s3, s5, v11, s3
	v_lshl_add_u32 v16, v8, 2, v6
	s_xor_b32 s3, s0, -1
	s_barrier
	s_and_b32 s5, vcc_lo, s3
	buffer_gl0_inv
	s_and_saveexec_b32 s4, s5
	s_cbranch_execz .LBB17_135
; %bb.134:
	v_mul_lo_u32 v1, v1, s10
	v_mul_lo_u32 v17, v0, s11
	v_mad_u64_u32 v[6:7], null, v0, s10, 0
	ds_load_u16 v18, v16
	v_add3_u32 v7, v7, v17, v1
	s_delay_alu instid0(VALU_DEP_1) | instskip(NEXT) | instid1(VALU_DEP_1)
	v_lshlrev_b64 v[6:7], 1, v[6:7]
	v_add_co_u32 v6, vcc_lo, v3, v6
	s_delay_alu instid0(VALU_DEP_2)
	v_add_co_ci_u32_e32 v7, vcc_lo, v15, v7, vcc_lo
	s_waitcnt lgkmcnt(0)
	global_store_b16 v[6:7], v18, off
.LBB17_135:
	s_or_b32 exec_lo, exec_lo, s4
	v_add_nc_u32_e32 v6, 8, v0
	s_delay_alu instid0(VALU_DEP_1) | instskip(NEXT) | instid1(VALU_DEP_1)
	v_ashrrev_i32_e32 v7, 31, v6
	v_cmp_gt_i64_e32 vcc_lo, s[16:17], v[6:7]
	s_and_b32 s5, vcc_lo, s3
	s_delay_alu instid0(SALU_CYCLE_1)
	s_and_saveexec_b32 s4, s5
	s_cbranch_execz .LBB17_137
; %bb.136:
	v_mul_lo_u32 v1, v7, s10
	v_mul_lo_u32 v7, v6, s11
	v_mad_u64_u32 v[17:18], null, v6, s10, 0
	ds_load_u16 v19, v16 offset:32
	v_add3_u32 v18, v18, v7, v1
	s_delay_alu instid0(VALU_DEP_1) | instskip(NEXT) | instid1(VALU_DEP_1)
	v_lshlrev_b64 v[6:7], 1, v[17:18]
	v_add_co_u32 v6, vcc_lo, v3, v6
	s_delay_alu instid0(VALU_DEP_2)
	v_add_co_ci_u32_e32 v7, vcc_lo, v15, v7, vcc_lo
	s_waitcnt lgkmcnt(0)
	global_store_b16 v[6:7], v19, off
.LBB17_137:
	s_or_b32 exec_lo, exec_lo, s4
	v_add_nc_u32_e32 v6, 16, v0
	s_delay_alu instid0(VALU_DEP_1) | instskip(NEXT) | instid1(VALU_DEP_1)
	v_ashrrev_i32_e32 v7, 31, v6
	v_cmp_gt_i64_e32 vcc_lo, s[16:17], v[6:7]
	s_and_b32 s5, vcc_lo, s3
	s_delay_alu instid0(SALU_CYCLE_1)
	s_and_saveexec_b32 s4, s5
	s_cbranch_execz .LBB17_139
; %bb.138:
	v_mul_lo_u32 v1, v7, s10
	v_mul_lo_u32 v7, v6, s11
	v_mad_u64_u32 v[17:18], null, v6, s10, 0
	ds_load_u16 v19, v16 offset:64
	v_add3_u32 v18, v18, v7, v1
	s_delay_alu instid0(VALU_DEP_1) | instskip(NEXT) | instid1(VALU_DEP_1)
	v_lshlrev_b64 v[6:7], 1, v[17:18]
	v_add_co_u32 v6, vcc_lo, v3, v6
	s_delay_alu instid0(VALU_DEP_2)
	v_add_co_ci_u32_e32 v7, vcc_lo, v15, v7, vcc_lo
	s_waitcnt lgkmcnt(0)
	global_store_b16 v[6:7], v19, off
.LBB17_139:
	;; [unrolled: 23-line block ×3, first 2 shown]
	s_or_b32 exec_lo, exec_lo, s3
	s_xor_b32 s9, s9, 1
.LBB17_142:
	s_delay_alu instid0(VALU_DEP_1)
	s_and_not1_b32 vcc_lo, exec_lo, s2
	s_cbranch_vccnz .LBB17_161
; %bb.143:
	s_or_b32 s2, s8, 7
	s_mov_b32 s3, 0
	s_delay_alu instid0(SALU_CYCLE_1)
	v_cmp_ge_u64_e32 vcc_lo, s[2:3], v[4:5]
	s_cbranch_vccnz .LBB17_161
; %bb.144:
	s_mul_i32 s3, s19, s2
	s_mul_hi_u32 s4, s18, s2
	s_mul_i32 s2, s18, s2
	s_add_i32 s3, s4, s3
	s_mul_i32 s4, s9, 0x1080
	s_and_saveexec_b32 s5, s1
	s_cbranch_execz .LBB17_153
; %bb.145:
	s_lshl_b64 s[6:7], s[2:3], 1
	v_ashrrev_i32_e32 v3, 31, v2
	v_add_co_u32 v6, vcc_lo, v13, s6
	v_add_co_ci_u32_e32 v7, vcc_lo, s7, v14, vcc_lo
	v_mul_u32_u24_e32 v5, 0x84, v8
	s_mov_b32 s1, exec_lo
	v_cmpx_gt_i64_e64 s[10:11], v[2:3]
	s_cbranch_execz .LBB17_147
; %bb.146:
	v_mul_lo_u32 v1, v3, s16
	v_mul_lo_u32 v13, v2, s17
	v_mad_u64_u32 v[3:4], null, v2, s16, 0
	s_delay_alu instid0(VALU_DEP_1) | instskip(NEXT) | instid1(VALU_DEP_1)
	v_add3_u32 v4, v4, v13, v1
	v_lshlrev_b64 v[3:4], 1, v[3:4]
	s_delay_alu instid0(VALU_DEP_1) | instskip(NEXT) | instid1(VALU_DEP_2)
	v_add_co_u32 v3, vcc_lo, v6, v3
	v_add_co_ci_u32_e32 v4, vcc_lo, v7, v4, vcc_lo
	global_load_u16 v1, v[3:4], off
	v_add3_u32 v3, v12, s4, v5
	s_waitcnt vmcnt(0)
	ds_store_b16 v3, v1
.LBB17_147:
	s_or_b32 exec_lo, exec_lo, s1
	v_add_nc_u32_e32 v3, 8, v2
	s_mov_b32 s1, exec_lo
	s_delay_alu instid0(VALU_DEP_1) | instskip(NEXT) | instid1(VALU_DEP_1)
	v_ashrrev_i32_e32 v4, 31, v3
	v_cmpx_gt_i64_e64 s[10:11], v[3:4]
	s_cbranch_execz .LBB17_149
; %bb.148:
	v_mul_lo_u32 v1, v4, s16
	v_mul_lo_u32 v4, v3, s17
	v_mad_u64_u32 v[13:14], null, v3, s16, 0
	s_delay_alu instid0(VALU_DEP_1) | instskip(NEXT) | instid1(VALU_DEP_1)
	v_add3_u32 v14, v14, v4, v1
	v_lshlrev_b64 v[3:4], 1, v[13:14]
	s_delay_alu instid0(VALU_DEP_1) | instskip(NEXT) | instid1(VALU_DEP_2)
	v_add_co_u32 v3, vcc_lo, v6, v3
	v_add_co_ci_u32_e32 v4, vcc_lo, v7, v4, vcc_lo
	global_load_u16 v1, v[3:4], off
	v_add3_u32 v3, v12, s4, v5
	s_waitcnt vmcnt(0)
	ds_store_b16 v3, v1 offset:1056
.LBB17_149:
	s_or_b32 exec_lo, exec_lo, s1
	v_add_nc_u32_e32 v3, 16, v2
	s_mov_b32 s1, exec_lo
	s_delay_alu instid0(VALU_DEP_1) | instskip(NEXT) | instid1(VALU_DEP_1)
	v_ashrrev_i32_e32 v4, 31, v3
	v_cmpx_gt_i64_e64 s[10:11], v[3:4]
	s_cbranch_execz .LBB17_151
; %bb.150:
	v_mul_lo_u32 v1, v4, s16
	v_mul_lo_u32 v4, v3, s17
	v_mad_u64_u32 v[13:14], null, v3, s16, 0
	s_delay_alu instid0(VALU_DEP_1) | instskip(NEXT) | instid1(VALU_DEP_1)
	v_add3_u32 v14, v14, v4, v1
	v_lshlrev_b64 v[3:4], 1, v[13:14]
	s_delay_alu instid0(VALU_DEP_1) | instskip(NEXT) | instid1(VALU_DEP_2)
	v_add_co_u32 v3, vcc_lo, v6, v3
	v_add_co_ci_u32_e32 v4, vcc_lo, v7, v4, vcc_lo
	global_load_u16 v1, v[3:4], off
	v_add3_u32 v3, v12, s4, v5
	s_waitcnt vmcnt(0)
	ds_store_b16 v3, v1 offset:2112
.LBB17_151:
	s_or_b32 exec_lo, exec_lo, s1
	v_add_nc_u32_e32 v1, 24, v2
	s_delay_alu instid0(VALU_DEP_1) | instskip(NEXT) | instid1(VALU_DEP_1)
	v_ashrrev_i32_e32 v2, 31, v1
	v_cmp_gt_i64_e32 vcc_lo, s[10:11], v[1:2]
	s_and_b32 exec_lo, exec_lo, vcc_lo
	s_cbranch_execz .LBB17_153
; %bb.152:
	v_mul_lo_u32 v4, v2, s16
	v_mul_lo_u32 v13, v1, s17
	v_mad_u64_u32 v[2:3], null, v1, s16, 0
	s_delay_alu instid0(VALU_DEP_1) | instskip(NEXT) | instid1(VALU_DEP_1)
	v_add3_u32 v3, v3, v13, v4
	v_lshlrev_b64 v[1:2], 1, v[2:3]
	s_delay_alu instid0(VALU_DEP_1) | instskip(NEXT) | instid1(VALU_DEP_2)
	v_add_co_u32 v1, vcc_lo, v6, v1
	v_add_co_ci_u32_e32 v2, vcc_lo, v7, v2, vcc_lo
	global_load_u16 v1, v[1:2], off
	v_add3_u32 v2, v12, s4, v5
	s_waitcnt vmcnt(0)
	ds_store_b16 v2, v1 offset:3168
.LBB17_153:
	s_or_b32 exec_lo, exec_lo, s5
	v_ashrrev_i32_e32 v1, 31, v0
	v_mad_u32_u24 v2, 0x84, v9, s4
	s_lshl_b64 s[2:3], s[2:3], 1
	s_xor_b32 s0, s0, -1
	v_add_co_u32 v3, s1, v10, s2
	v_cmp_gt_i64_e32 vcc_lo, s[16:17], v[0:1]
	v_add_co_ci_u32_e64 v4, s1, s3, v11, s1
	v_lshl_add_u32 v5, v8, 2, v2
	s_waitcnt lgkmcnt(0)
	s_waitcnt_vscnt null, 0x0
	s_barrier
	s_and_b32 s2, vcc_lo, s0
	buffer_gl0_inv
	s_and_saveexec_b32 s1, s2
	s_cbranch_execz .LBB17_155
; %bb.154:
	v_mul_lo_u32 v6, v1, s10
	v_mul_lo_u32 v7, v0, s11
	v_mad_u64_u32 v[1:2], null, v0, s10, 0
	ds_load_u16 v8, v5
	v_add3_u32 v2, v2, v7, v6
	s_delay_alu instid0(VALU_DEP_1) | instskip(NEXT) | instid1(VALU_DEP_1)
	v_lshlrev_b64 v[1:2], 1, v[1:2]
	v_add_co_u32 v1, vcc_lo, v3, v1
	s_delay_alu instid0(VALU_DEP_2)
	v_add_co_ci_u32_e32 v2, vcc_lo, v4, v2, vcc_lo
	s_waitcnt lgkmcnt(0)
	global_store_b16 v[1:2], v8, off
.LBB17_155:
	s_or_b32 exec_lo, exec_lo, s1
	v_add_nc_u32_e32 v1, 8, v0
	s_delay_alu instid0(VALU_DEP_1) | instskip(NEXT) | instid1(VALU_DEP_1)
	v_ashrrev_i32_e32 v2, 31, v1
	v_cmp_gt_i64_e32 vcc_lo, s[16:17], v[1:2]
	s_and_b32 s2, vcc_lo, s0
	s_delay_alu instid0(SALU_CYCLE_1)
	s_and_saveexec_b32 s1, s2
	s_cbranch_execz .LBB17_157
; %bb.156:
	v_mul_lo_u32 v2, v2, s10
	v_mul_lo_u32 v8, v1, s11
	v_mad_u64_u32 v[6:7], null, v1, s10, 0
	ds_load_u16 v9, v5 offset:32
	v_add3_u32 v7, v7, v8, v2
	s_delay_alu instid0(VALU_DEP_1) | instskip(NEXT) | instid1(VALU_DEP_1)
	v_lshlrev_b64 v[1:2], 1, v[6:7]
	v_add_co_u32 v1, vcc_lo, v3, v1
	s_delay_alu instid0(VALU_DEP_2)
	v_add_co_ci_u32_e32 v2, vcc_lo, v4, v2, vcc_lo
	s_waitcnt lgkmcnt(0)
	global_store_b16 v[1:2], v9, off
.LBB17_157:
	s_or_b32 exec_lo, exec_lo, s1
	v_add_nc_u32_e32 v1, 16, v0
	s_delay_alu instid0(VALU_DEP_1) | instskip(NEXT) | instid1(VALU_DEP_1)
	v_ashrrev_i32_e32 v2, 31, v1
	v_cmp_gt_i64_e32 vcc_lo, s[16:17], v[1:2]
	s_and_b32 s2, vcc_lo, s0
	s_delay_alu instid0(SALU_CYCLE_1)
	s_and_saveexec_b32 s1, s2
	s_cbranch_execz .LBB17_159
; %bb.158:
	v_mul_lo_u32 v2, v2, s10
	v_mul_lo_u32 v8, v1, s11
	v_mad_u64_u32 v[6:7], null, v1, s10, 0
	ds_load_u16 v9, v5 offset:64
	v_add3_u32 v7, v7, v8, v2
	s_delay_alu instid0(VALU_DEP_1) | instskip(NEXT) | instid1(VALU_DEP_1)
	v_lshlrev_b64 v[1:2], 1, v[6:7]
	v_add_co_u32 v1, vcc_lo, v3, v1
	s_delay_alu instid0(VALU_DEP_2)
	v_add_co_ci_u32_e32 v2, vcc_lo, v4, v2, vcc_lo
	s_waitcnt lgkmcnt(0)
	global_store_b16 v[1:2], v9, off
.LBB17_159:
	s_or_b32 exec_lo, exec_lo, s1
	v_add_nc_u32_e32 v0, 24, v0
	s_delay_alu instid0(VALU_DEP_1) | instskip(NEXT) | instid1(VALU_DEP_1)
	v_ashrrev_i32_e32 v1, 31, v0
	v_cmp_gt_i64_e32 vcc_lo, s[16:17], v[0:1]
	s_and_b32 s0, vcc_lo, s0
	s_delay_alu instid0(SALU_CYCLE_1)
	s_and_saveexec_b32 s1, s0
	s_cbranch_execz .LBB17_161
; %bb.160:
	v_mul_lo_u32 v6, v1, s10
	v_mul_lo_u32 v7, v0, s11
	v_mad_u64_u32 v[1:2], null, v0, s10, 0
	ds_load_u16 v5, v5 offset:96
	v_add3_u32 v2, v2, v7, v6
	s_delay_alu instid0(VALU_DEP_1) | instskip(NEXT) | instid1(VALU_DEP_1)
	v_lshlrev_b64 v[0:1], 1, v[1:2]
	v_add_co_u32 v0, vcc_lo, v3, v0
	s_delay_alu instid0(VALU_DEP_2)
	v_add_co_ci_u32_e32 v1, vcc_lo, v4, v1, vcc_lo
	s_waitcnt lgkmcnt(0)
	global_store_b16 v[0:1], v5, off
.LBB17_161:
	s_nop 0
	s_sendmsg sendmsg(MSG_DEALLOC_VGPRS)
	s_endpgm
.LBB17_162:
                                        ; implicit-def: $vgpr4_vgpr5
	s_branch .LBB17_2
	.section	.rodata,"a",@progbits
	.p2align	6, 0x0
	.amdhsa_kernel _ZL20cpy_scalar_transposeI6__halfEvPKcPclllllllllllllll
		.amdhsa_group_segment_fixed_size 8448
		.amdhsa_private_segment_fixed_size 0
		.amdhsa_kernarg_size 136
		.amdhsa_user_sgpr_count 13
		.amdhsa_user_sgpr_dispatch_ptr 0
		.amdhsa_user_sgpr_queue_ptr 0
		.amdhsa_user_sgpr_kernarg_segment_ptr 1
		.amdhsa_user_sgpr_dispatch_id 0
		.amdhsa_user_sgpr_private_segment_size 0
		.amdhsa_wavefront_size32 1
		.amdhsa_uses_dynamic_stack 0
		.amdhsa_enable_private_segment 0
		.amdhsa_system_sgpr_workgroup_id_x 1
		.amdhsa_system_sgpr_workgroup_id_y 1
		.amdhsa_system_sgpr_workgroup_id_z 1
		.amdhsa_system_sgpr_workgroup_info 0
		.amdhsa_system_vgpr_workitem_id 1
		.amdhsa_next_free_vgpr 20
		.amdhsa_next_free_sgpr 30
		.amdhsa_reserve_vcc 1
		.amdhsa_float_round_mode_32 0
		.amdhsa_float_round_mode_16_64 0
		.amdhsa_float_denorm_mode_32 3
		.amdhsa_float_denorm_mode_16_64 3
		.amdhsa_dx10_clamp 1
		.amdhsa_ieee_mode 1
		.amdhsa_fp16_overflow 0
		.amdhsa_workgroup_processor_mode 1
		.amdhsa_memory_ordered 1
		.amdhsa_forward_progress 0
		.amdhsa_shared_vgpr_count 0
		.amdhsa_exception_fp_ieee_invalid_op 0
		.amdhsa_exception_fp_denorm_src 0
		.amdhsa_exception_fp_ieee_div_zero 0
		.amdhsa_exception_fp_ieee_overflow 0
		.amdhsa_exception_fp_ieee_underflow 0
		.amdhsa_exception_fp_ieee_inexact 0
		.amdhsa_exception_int_div_zero 0
	.end_amdhsa_kernel
	.section	.text._ZL20cpy_scalar_transposeI6__halfEvPKcPclllllllllllllll,"axG",@progbits,_ZL20cpy_scalar_transposeI6__halfEvPKcPclllllllllllllll,comdat
.Lfunc_end17:
	.size	_ZL20cpy_scalar_transposeI6__halfEvPKcPclllllllllllllll, .Lfunc_end17-_ZL20cpy_scalar_transposeI6__halfEvPKcPclllllllllllllll
                                        ; -- End function
	.section	.AMDGPU.csdata,"",@progbits
; Kernel info:
; codeLenInByte = 9872
; NumSgprs: 32
; NumVgprs: 20
; ScratchSize: 0
; MemoryBound: 0
; FloatMode: 240
; IeeeMode: 1
; LDSByteSize: 8448 bytes/workgroup (compile time only)
; SGPRBlocks: 3
; VGPRBlocks: 2
; NumSGPRsForWavesPerEU: 32
; NumVGPRsForWavesPerEU: 20
; Occupancy: 16
; WaveLimiterHint : 0
; COMPUTE_PGM_RSRC2:SCRATCH_EN: 0
; COMPUTE_PGM_RSRC2:USER_SGPR: 13
; COMPUTE_PGM_RSRC2:TRAP_HANDLER: 0
; COMPUTE_PGM_RSRC2:TGID_X_EN: 1
; COMPUTE_PGM_RSRC2:TGID_Y_EN: 1
; COMPUTE_PGM_RSRC2:TGID_Z_EN: 1
; COMPUTE_PGM_RSRC2:TIDIG_COMP_CNT: 1
	.section	.text._ZL10cpy_scalarIXadL_ZL12cpy_1_scalarIf6__halfEvPKcPcEEEvS3_S4_lllllllllllllll,"axG",@progbits,_ZL10cpy_scalarIXadL_ZL12cpy_1_scalarIf6__halfEvPKcPcEEEvS3_S4_lllllllllllllll,comdat
	.globl	_ZL10cpy_scalarIXadL_ZL12cpy_1_scalarIf6__halfEvPKcPcEEEvS3_S4_lllllllllllllll ; -- Begin function _ZL10cpy_scalarIXadL_ZL12cpy_1_scalarIf6__halfEvPKcPcEEEvS3_S4_lllllllllllllll
	.p2align	8
	.type	_ZL10cpy_scalarIXadL_ZL12cpy_1_scalarIf6__halfEvPKcPcEEEvS3_S4_lllllllllllllll,@function
_ZL10cpy_scalarIXadL_ZL12cpy_1_scalarIf6__halfEvPKcPcEEEvS3_S4_lllllllllllllll: ; @_ZL10cpy_scalarIXadL_ZL12cpy_1_scalarIf6__halfEvPKcPcEEEvS3_S4_lllllllllllllll
; %bb.0:
	s_clause 0x1
	s_load_b32 s2, s[0:1], 0x94
	s_load_b512 s[16:31], s[0:1], 0x0
	v_mov_b32_e32 v2, 0
	s_delay_alu instid0(VALU_DEP_1)
	v_mov_b32_e32 v1, v2
	s_waitcnt lgkmcnt(0)
	s_and_b32 s2, s2, 0xffff
	s_delay_alu instid0(VALU_DEP_1) | instid1(SALU_CYCLE_1)
	v_mad_u64_u32 v[4:5], null, s2, s15, v[0:1]
	s_mov_b32 s2, exec_lo
	s_delay_alu instid0(VALU_DEP_1)
	v_cmpx_gt_i64_e64 s[20:21], v[4:5]
	s_cbranch_execz .LBB18_26
; %bb.1:
	s_mul_i32 s2, s24, s23
	s_mul_hi_u32 s3, s24, s22
	v_ashrrev_i32_e32 v10, 31, v5
	s_add_i32 s8, s3, s2
	s_mul_i32 s3, s24, s22
	s_mul_i32 s2, s25, s22
	;; [unrolled: 1-line block ×3, first 2 shown]
	s_mul_hi_u32 s5, s3, s26
	s_add_i32 s8, s8, s2
	s_add_i32 s2, s5, s4
	s_mul_i32 s4, s8, s26
	s_mul_i32 s10, s3, s26
	s_add_i32 s9, s2, s4
                                        ; implicit-def: $vgpr0_vgpr1
	s_mov_b32 s2, exec_lo
	v_or_b32_e32 v3, s9, v5
	s_delay_alu instid0(VALU_DEP_1)
	v_cmpx_ne_u64_e32 0, v[2:3]
	s_xor_b32 s11, exec_lo, s2
	s_cbranch_execz .LBB18_3
; %bb.2:
	s_ashr_i32 s4, s9, 31
	s_delay_alu instid0(SALU_CYCLE_1) | instskip(SKIP_2) | instid1(SALU_CYCLE_1)
	s_add_u32 s6, s10, s4
	s_mov_b32 s5, s4
	s_addc_u32 s7, s9, s4
	s_xor_b64 s[6:7], s[6:7], s[4:5]
	s_delay_alu instid0(SALU_CYCLE_1) | instskip(SKIP_3) | instid1(VALU_DEP_1)
	v_cvt_f32_u32_e32 v0, s6
	v_cvt_f32_u32_e32 v1, s7
	s_sub_u32 s2, 0, s6
	s_subb_u32 s5, 0, s7
	v_fmamk_f32 v0, v1, 0x4f800000, v0
	s_delay_alu instid0(VALU_DEP_1) | instskip(SKIP_2) | instid1(VALU_DEP_1)
	v_rcp_f32_e32 v0, v0
	s_waitcnt_depctr 0xfff
	v_mul_f32_e32 v0, 0x5f7ffffc, v0
	v_mul_f32_e32 v1, 0x2f800000, v0
	s_delay_alu instid0(VALU_DEP_1) | instskip(NEXT) | instid1(VALU_DEP_1)
	v_trunc_f32_e32 v1, v1
	v_fmamk_f32 v0, v1, 0xcf800000, v0
	v_cvt_u32_f32_e32 v1, v1
	s_delay_alu instid0(VALU_DEP_2) | instskip(NEXT) | instid1(VALU_DEP_2)
	v_cvt_u32_f32_e32 v0, v0
	v_mul_lo_u32 v2, s2, v1
	s_delay_alu instid0(VALU_DEP_2) | instskip(SKIP_1) | instid1(VALU_DEP_2)
	v_mul_hi_u32 v3, s2, v0
	v_mul_lo_u32 v6, s5, v0
	v_add_nc_u32_e32 v2, v3, v2
	v_mul_lo_u32 v3, s2, v0
	s_delay_alu instid0(VALU_DEP_2) | instskip(NEXT) | instid1(VALU_DEP_2)
	v_add_nc_u32_e32 v2, v2, v6
	v_mul_hi_u32 v6, v0, v3
	s_delay_alu instid0(VALU_DEP_2)
	v_mul_lo_u32 v7, v0, v2
	v_mul_hi_u32 v8, v0, v2
	v_mul_hi_u32 v9, v1, v3
	v_mul_lo_u32 v3, v1, v3
	v_mul_hi_u32 v11, v1, v2
	v_mul_lo_u32 v2, v1, v2
	v_add_co_u32 v6, vcc_lo, v6, v7
	v_add_co_ci_u32_e32 v7, vcc_lo, 0, v8, vcc_lo
	s_delay_alu instid0(VALU_DEP_2) | instskip(NEXT) | instid1(VALU_DEP_2)
	v_add_co_u32 v3, vcc_lo, v6, v3
	v_add_co_ci_u32_e32 v3, vcc_lo, v7, v9, vcc_lo
	v_add_co_ci_u32_e32 v6, vcc_lo, 0, v11, vcc_lo
	s_delay_alu instid0(VALU_DEP_2) | instskip(NEXT) | instid1(VALU_DEP_2)
	v_add_co_u32 v2, vcc_lo, v3, v2
	v_add_co_ci_u32_e32 v3, vcc_lo, 0, v6, vcc_lo
	s_delay_alu instid0(VALU_DEP_2) | instskip(NEXT) | instid1(VALU_DEP_2)
	v_add_co_u32 v0, vcc_lo, v0, v2
	v_add_co_ci_u32_e32 v1, vcc_lo, v1, v3, vcc_lo
	s_delay_alu instid0(VALU_DEP_2) | instskip(SKIP_1) | instid1(VALU_DEP_3)
	v_mul_hi_u32 v2, s2, v0
	v_mul_lo_u32 v6, s5, v0
	v_mul_lo_u32 v3, s2, v1
	s_delay_alu instid0(VALU_DEP_1) | instskip(SKIP_1) | instid1(VALU_DEP_2)
	v_add_nc_u32_e32 v2, v2, v3
	v_mul_lo_u32 v3, s2, v0
	v_add_nc_u32_e32 v2, v2, v6
	s_delay_alu instid0(VALU_DEP_2) | instskip(NEXT) | instid1(VALU_DEP_2)
	v_mul_hi_u32 v6, v0, v3
	v_mul_lo_u32 v7, v0, v2
	v_mul_hi_u32 v8, v0, v2
	v_mul_hi_u32 v9, v1, v3
	v_mul_lo_u32 v3, v1, v3
	v_mul_hi_u32 v11, v1, v2
	v_mul_lo_u32 v2, v1, v2
	v_add_co_u32 v6, vcc_lo, v6, v7
	v_add_co_ci_u32_e32 v7, vcc_lo, 0, v8, vcc_lo
	s_delay_alu instid0(VALU_DEP_2) | instskip(NEXT) | instid1(VALU_DEP_2)
	v_add_co_u32 v3, vcc_lo, v6, v3
	v_add_co_ci_u32_e32 v3, vcc_lo, v7, v9, vcc_lo
	v_add_co_ci_u32_e32 v6, vcc_lo, 0, v11, vcc_lo
	v_add_co_u32 v7, vcc_lo, v4, v10
	v_add_co_ci_u32_e32 v8, vcc_lo, v5, v10, vcc_lo
	s_delay_alu instid0(VALU_DEP_4) | instskip(NEXT) | instid1(VALU_DEP_4)
	v_add_co_u32 v2, vcc_lo, v3, v2
	v_add_co_ci_u32_e32 v3, vcc_lo, 0, v6, vcc_lo
	s_delay_alu instid0(VALU_DEP_4) | instskip(NEXT) | instid1(VALU_DEP_3)
	v_xor_b32_e32 v9, v7, v10
	v_add_co_u32 v6, vcc_lo, v0, v2
	s_delay_alu instid0(VALU_DEP_3) | instskip(SKIP_1) | instid1(VALU_DEP_3)
	v_add_co_ci_u32_e32 v11, vcc_lo, v1, v3, vcc_lo
	v_xor_b32_e32 v8, v8, v10
	v_mul_hi_u32 v12, v9, v6
	s_delay_alu instid0(VALU_DEP_3) | instskip(NEXT) | instid1(VALU_DEP_3)
	v_mad_u64_u32 v[0:1], null, v9, v11, 0
	v_mad_u64_u32 v[2:3], null, v8, v6, 0
	;; [unrolled: 1-line block ×3, first 2 shown]
	s_delay_alu instid0(VALU_DEP_3) | instskip(NEXT) | instid1(VALU_DEP_4)
	v_add_co_u32 v0, vcc_lo, v12, v0
	v_add_co_ci_u32_e32 v1, vcc_lo, 0, v1, vcc_lo
	s_delay_alu instid0(VALU_DEP_2) | instskip(NEXT) | instid1(VALU_DEP_2)
	v_add_co_u32 v0, vcc_lo, v0, v2
	v_add_co_ci_u32_e32 v0, vcc_lo, v1, v3, vcc_lo
	v_add_co_ci_u32_e32 v1, vcc_lo, 0, v7, vcc_lo
	s_delay_alu instid0(VALU_DEP_2) | instskip(NEXT) | instid1(VALU_DEP_2)
	v_add_co_u32 v2, vcc_lo, v0, v6
	v_add_co_ci_u32_e32 v3, vcc_lo, 0, v1, vcc_lo
	s_delay_alu instid0(VALU_DEP_2) | instskip(SKIP_1) | instid1(VALU_DEP_3)
	v_mul_lo_u32 v6, s7, v2
	v_mad_u64_u32 v[0:1], null, s6, v2, 0
	v_mul_lo_u32 v7, s6, v3
	s_delay_alu instid0(VALU_DEP_2) | instskip(NEXT) | instid1(VALU_DEP_2)
	v_sub_co_u32 v0, vcc_lo, v9, v0
	v_add3_u32 v1, v1, v7, v6
	s_delay_alu instid0(VALU_DEP_1) | instskip(NEXT) | instid1(VALU_DEP_1)
	v_sub_nc_u32_e32 v6, v8, v1
	v_subrev_co_ci_u32_e64 v6, s2, s7, v6, vcc_lo
	v_add_co_u32 v7, s2, v2, 2
	s_delay_alu instid0(VALU_DEP_1) | instskip(SKIP_3) | instid1(VALU_DEP_3)
	v_add_co_ci_u32_e64 v9, s2, 0, v3, s2
	v_sub_co_u32 v11, s2, v0, s6
	v_sub_co_ci_u32_e32 v1, vcc_lo, v8, v1, vcc_lo
	v_subrev_co_ci_u32_e64 v6, s2, 0, v6, s2
	v_cmp_le_u32_e32 vcc_lo, s6, v11
	s_delay_alu instid0(VALU_DEP_3) | instskip(SKIP_1) | instid1(VALU_DEP_4)
	v_cmp_eq_u32_e64 s2, s7, v1
	v_cndmask_b32_e64 v8, 0, -1, vcc_lo
	v_cmp_le_u32_e32 vcc_lo, s7, v6
	v_cndmask_b32_e64 v11, 0, -1, vcc_lo
	v_cmp_le_u32_e32 vcc_lo, s6, v0
	;; [unrolled: 2-line block ×3, first 2 shown]
	v_cndmask_b32_e64 v12, 0, -1, vcc_lo
	v_cmp_eq_u32_e32 vcc_lo, s7, v6
	s_delay_alu instid0(VALU_DEP_2) | instskip(SKIP_3) | instid1(VALU_DEP_3)
	v_cndmask_b32_e64 v0, v12, v0, s2
	v_cndmask_b32_e32 v6, v11, v8, vcc_lo
	v_add_co_u32 v8, vcc_lo, v2, 1
	v_add_co_ci_u32_e32 v11, vcc_lo, 0, v3, vcc_lo
	v_cmp_ne_u32_e32 vcc_lo, 0, v6
	s_delay_alu instid0(VALU_DEP_2) | instskip(SKIP_2) | instid1(VALU_DEP_3)
	v_dual_cndmask_b32 v1, v11, v9 :: v_dual_cndmask_b32 v6, v8, v7
	v_cmp_ne_u32_e32 vcc_lo, 0, v0
	v_xor_b32_e32 v7, s4, v10
	v_dual_cndmask_b32 v0, v3, v1 :: v_dual_cndmask_b32 v1, v2, v6
	s_delay_alu instid0(VALU_DEP_1) | instskip(NEXT) | instid1(VALU_DEP_2)
	v_xor_b32_e32 v2, v0, v7
	v_xor_b32_e32 v1, v1, v7
	s_delay_alu instid0(VALU_DEP_1) | instskip(NEXT) | instid1(VALU_DEP_3)
	v_sub_co_u32 v0, vcc_lo, v1, v7
	v_sub_co_ci_u32_e32 v1, vcc_lo, v2, v7, vcc_lo
.LBB18_3:
	s_and_not1_saveexec_b32 s2, s11
	s_cbranch_execz .LBB18_5
; %bb.4:
	v_cvt_f32_u32_e32 v0, s10
	s_sub_i32 s4, 0, s10
	s_delay_alu instid0(VALU_DEP_1) | instskip(SKIP_2) | instid1(VALU_DEP_1)
	v_rcp_iflag_f32_e32 v0, v0
	s_waitcnt_depctr 0xfff
	v_mul_f32_e32 v0, 0x4f7ffffe, v0
	v_cvt_u32_f32_e32 v0, v0
	s_delay_alu instid0(VALU_DEP_1) | instskip(NEXT) | instid1(VALU_DEP_1)
	v_mul_lo_u32 v1, s4, v0
	v_mul_hi_u32 v1, v0, v1
	s_delay_alu instid0(VALU_DEP_1) | instskip(NEXT) | instid1(VALU_DEP_1)
	v_add_nc_u32_e32 v0, v0, v1
	v_mul_hi_u32 v0, v4, v0
	s_delay_alu instid0(VALU_DEP_1) | instskip(SKIP_1) | instid1(VALU_DEP_2)
	v_mul_lo_u32 v1, v0, s10
	v_add_nc_u32_e32 v2, 1, v0
	v_sub_nc_u32_e32 v1, v4, v1
	s_delay_alu instid0(VALU_DEP_1) | instskip(SKIP_1) | instid1(VALU_DEP_2)
	v_subrev_nc_u32_e32 v3, s10, v1
	v_cmp_le_u32_e32 vcc_lo, s10, v1
	v_dual_cndmask_b32 v1, v1, v3 :: v_dual_cndmask_b32 v0, v0, v2
	s_delay_alu instid0(VALU_DEP_1) | instskip(NEXT) | instid1(VALU_DEP_2)
	v_cmp_le_u32_e32 vcc_lo, s10, v1
	v_dual_mov_b32 v1, 0 :: v_dual_add_nc_u32 v2, 1, v0
	s_delay_alu instid0(VALU_DEP_1)
	v_cndmask_b32_e32 v0, v0, v2, vcc_lo
.LBB18_5:
	s_or_b32 exec_lo, exec_lo, s2
	s_delay_alu instid0(VALU_DEP_1) | instskip(NEXT) | instid1(VALU_DEP_2)
	v_mul_lo_u32 v6, s9, v0
	v_mul_lo_u32 v7, s10, v1
	v_mad_u64_u32 v[2:3], null, s10, v0, 0
	s_delay_alu instid0(VALU_DEP_1) | instskip(NEXT) | instid1(VALU_DEP_2)
	v_add3_u32 v3, v3, v7, v6
	v_sub_co_u32 v6, vcc_lo, v4, v2
	v_mov_b32_e32 v2, 0
	s_delay_alu instid0(VALU_DEP_3) | instskip(NEXT) | instid1(VALU_DEP_1)
	v_sub_co_ci_u32_e32 v7, vcc_lo, v5, v3, vcc_lo
	v_or_b32_e32 v3, s8, v7
	s_delay_alu instid0(VALU_DEP_1) | instskip(SKIP_1) | instid1(SALU_CYCLE_1)
	v_cmp_ne_u64_e32 vcc_lo, 0, v[2:3]
                                        ; implicit-def: $vgpr2_vgpr3
	s_and_saveexec_b32 s2, vcc_lo
	s_xor_b32 s9, exec_lo, s2
	s_cbranch_execz .LBB18_7
; %bb.6:
	s_ashr_i32 s4, s8, 31
	s_delay_alu instid0(SALU_CYCLE_1) | instskip(SKIP_2) | instid1(SALU_CYCLE_1)
	s_add_u32 s6, s3, s4
	s_mov_b32 s5, s4
	s_addc_u32 s7, s8, s4
	s_xor_b64 s[6:7], s[6:7], s[4:5]
	s_delay_alu instid0(SALU_CYCLE_1) | instskip(SKIP_3) | instid1(VALU_DEP_1)
	v_cvt_f32_u32_e32 v2, s6
	v_cvt_f32_u32_e32 v3, s7
	s_sub_u32 s2, 0, s6
	s_subb_u32 s5, 0, s7
	v_fmamk_f32 v2, v3, 0x4f800000, v2
	s_delay_alu instid0(VALU_DEP_1) | instskip(SKIP_2) | instid1(VALU_DEP_1)
	v_rcp_f32_e32 v2, v2
	s_waitcnt_depctr 0xfff
	v_mul_f32_e32 v2, 0x5f7ffffc, v2
	v_mul_f32_e32 v3, 0x2f800000, v2
	s_delay_alu instid0(VALU_DEP_1) | instskip(NEXT) | instid1(VALU_DEP_1)
	v_trunc_f32_e32 v3, v3
	v_fmamk_f32 v2, v3, 0xcf800000, v2
	v_cvt_u32_f32_e32 v3, v3
	s_delay_alu instid0(VALU_DEP_2) | instskip(NEXT) | instid1(VALU_DEP_2)
	v_cvt_u32_f32_e32 v2, v2
	v_mul_lo_u32 v8, s2, v3
	s_delay_alu instid0(VALU_DEP_2) | instskip(SKIP_1) | instid1(VALU_DEP_2)
	v_mul_hi_u32 v9, s2, v2
	v_mul_lo_u32 v11, s5, v2
	v_add_nc_u32_e32 v8, v9, v8
	v_mul_lo_u32 v9, s2, v2
	s_delay_alu instid0(VALU_DEP_2) | instskip(NEXT) | instid1(VALU_DEP_2)
	v_add_nc_u32_e32 v8, v8, v11
	v_mul_hi_u32 v11, v2, v9
	s_delay_alu instid0(VALU_DEP_2)
	v_mul_lo_u32 v12, v2, v8
	v_mul_hi_u32 v13, v2, v8
	v_mul_hi_u32 v14, v3, v9
	v_mul_lo_u32 v9, v3, v9
	v_mul_hi_u32 v15, v3, v8
	v_mul_lo_u32 v8, v3, v8
	v_add_co_u32 v11, vcc_lo, v11, v12
	v_add_co_ci_u32_e32 v12, vcc_lo, 0, v13, vcc_lo
	s_delay_alu instid0(VALU_DEP_2) | instskip(NEXT) | instid1(VALU_DEP_2)
	v_add_co_u32 v9, vcc_lo, v11, v9
	v_add_co_ci_u32_e32 v9, vcc_lo, v12, v14, vcc_lo
	v_add_co_ci_u32_e32 v11, vcc_lo, 0, v15, vcc_lo
	v_ashrrev_i32_e32 v14, 31, v7
	s_delay_alu instid0(VALU_DEP_3) | instskip(NEXT) | instid1(VALU_DEP_3)
	v_add_co_u32 v8, vcc_lo, v9, v8
	v_add_co_ci_u32_e32 v9, vcc_lo, 0, v11, vcc_lo
	s_delay_alu instid0(VALU_DEP_2) | instskip(NEXT) | instid1(VALU_DEP_2)
	v_add_co_u32 v2, vcc_lo, v2, v8
	v_add_co_ci_u32_e32 v3, vcc_lo, v3, v9, vcc_lo
	s_delay_alu instid0(VALU_DEP_2) | instskip(SKIP_1) | instid1(VALU_DEP_3)
	v_mul_hi_u32 v8, s2, v2
	v_mul_lo_u32 v11, s5, v2
	v_mul_lo_u32 v9, s2, v3
	s_delay_alu instid0(VALU_DEP_1) | instskip(SKIP_1) | instid1(VALU_DEP_2)
	v_add_nc_u32_e32 v8, v8, v9
	v_mul_lo_u32 v9, s2, v2
	v_add_nc_u32_e32 v8, v8, v11
	s_delay_alu instid0(VALU_DEP_2) | instskip(NEXT) | instid1(VALU_DEP_2)
	v_mul_hi_u32 v11, v2, v9
	v_mul_lo_u32 v12, v2, v8
	v_mul_hi_u32 v13, v2, v8
	v_mul_hi_u32 v15, v3, v9
	v_mul_lo_u32 v9, v3, v9
	v_mul_hi_u32 v16, v3, v8
	v_mul_lo_u32 v8, v3, v8
	v_add_co_u32 v11, vcc_lo, v11, v12
	v_add_co_ci_u32_e32 v12, vcc_lo, 0, v13, vcc_lo
	s_delay_alu instid0(VALU_DEP_2) | instskip(NEXT) | instid1(VALU_DEP_2)
	v_add_co_u32 v9, vcc_lo, v11, v9
	v_add_co_ci_u32_e32 v9, vcc_lo, v12, v15, vcc_lo
	v_add_co_ci_u32_e32 v11, vcc_lo, 0, v16, vcc_lo
	v_add_co_u32 v12, vcc_lo, v6, v14
	v_add_co_ci_u32_e32 v13, vcc_lo, v7, v14, vcc_lo
	s_delay_alu instid0(VALU_DEP_4) | instskip(NEXT) | instid1(VALU_DEP_4)
	v_add_co_u32 v8, vcc_lo, v9, v8
	v_add_co_ci_u32_e32 v9, vcc_lo, 0, v11, vcc_lo
	s_delay_alu instid0(VALU_DEP_4) | instskip(NEXT) | instid1(VALU_DEP_3)
	v_xor_b32_e32 v15, v12, v14
	v_add_co_u32 v11, vcc_lo, v2, v8
	s_delay_alu instid0(VALU_DEP_3) | instskip(SKIP_1) | instid1(VALU_DEP_3)
	v_add_co_ci_u32_e32 v16, vcc_lo, v3, v9, vcc_lo
	v_xor_b32_e32 v13, v13, v14
	v_mul_hi_u32 v17, v15, v11
	s_delay_alu instid0(VALU_DEP_3) | instskip(NEXT) | instid1(VALU_DEP_3)
	v_mad_u64_u32 v[2:3], null, v15, v16, 0
	v_mad_u64_u32 v[8:9], null, v13, v11, 0
	;; [unrolled: 1-line block ×3, first 2 shown]
	s_delay_alu instid0(VALU_DEP_3) | instskip(NEXT) | instid1(VALU_DEP_4)
	v_add_co_u32 v2, vcc_lo, v17, v2
	v_add_co_ci_u32_e32 v3, vcc_lo, 0, v3, vcc_lo
	s_delay_alu instid0(VALU_DEP_2) | instskip(NEXT) | instid1(VALU_DEP_2)
	v_add_co_u32 v2, vcc_lo, v2, v8
	v_add_co_ci_u32_e32 v2, vcc_lo, v3, v9, vcc_lo
	v_add_co_ci_u32_e32 v3, vcc_lo, 0, v12, vcc_lo
	s_delay_alu instid0(VALU_DEP_2) | instskip(NEXT) | instid1(VALU_DEP_2)
	v_add_co_u32 v8, vcc_lo, v2, v11
	v_add_co_ci_u32_e32 v9, vcc_lo, 0, v3, vcc_lo
	s_delay_alu instid0(VALU_DEP_2) | instskip(SKIP_1) | instid1(VALU_DEP_3)
	v_mul_lo_u32 v11, s7, v8
	v_mad_u64_u32 v[2:3], null, s6, v8, 0
	v_mul_lo_u32 v12, s6, v9
	s_delay_alu instid0(VALU_DEP_2) | instskip(NEXT) | instid1(VALU_DEP_2)
	v_sub_co_u32 v2, vcc_lo, v15, v2
	v_add3_u32 v3, v3, v12, v11
	s_delay_alu instid0(VALU_DEP_1) | instskip(NEXT) | instid1(VALU_DEP_1)
	v_sub_nc_u32_e32 v11, v13, v3
	v_subrev_co_ci_u32_e64 v11, s2, s7, v11, vcc_lo
	v_add_co_u32 v12, s2, v8, 2
	s_delay_alu instid0(VALU_DEP_1) | instskip(SKIP_3) | instid1(VALU_DEP_3)
	v_add_co_ci_u32_e64 v15, s2, 0, v9, s2
	v_sub_co_u32 v16, s2, v2, s6
	v_sub_co_ci_u32_e32 v3, vcc_lo, v13, v3, vcc_lo
	v_subrev_co_ci_u32_e64 v11, s2, 0, v11, s2
	v_cmp_le_u32_e32 vcc_lo, s6, v16
	s_delay_alu instid0(VALU_DEP_3) | instskip(SKIP_1) | instid1(VALU_DEP_4)
	v_cmp_eq_u32_e64 s2, s7, v3
	v_cndmask_b32_e64 v13, 0, -1, vcc_lo
	v_cmp_le_u32_e32 vcc_lo, s7, v11
	v_cndmask_b32_e64 v16, 0, -1, vcc_lo
	v_cmp_le_u32_e32 vcc_lo, s6, v2
	v_cndmask_b32_e64 v2, 0, -1, vcc_lo
	v_cmp_le_u32_e32 vcc_lo, s7, v3
	v_cndmask_b32_e64 v17, 0, -1, vcc_lo
	v_cmp_eq_u32_e32 vcc_lo, s7, v11
	s_delay_alu instid0(VALU_DEP_2) | instskip(SKIP_3) | instid1(VALU_DEP_3)
	v_cndmask_b32_e64 v2, v17, v2, s2
	v_cndmask_b32_e32 v11, v16, v13, vcc_lo
	v_add_co_u32 v13, vcc_lo, v8, 1
	v_add_co_ci_u32_e32 v16, vcc_lo, 0, v9, vcc_lo
	v_cmp_ne_u32_e32 vcc_lo, 0, v11
	s_delay_alu instid0(VALU_DEP_3) | instskip(NEXT) | instid1(VALU_DEP_3)
	v_cndmask_b32_e32 v11, v13, v12, vcc_lo
	v_cndmask_b32_e32 v3, v16, v15, vcc_lo
	v_cmp_ne_u32_e32 vcc_lo, 0, v2
	v_xor_b32_e32 v12, s4, v14
	s_delay_alu instid0(VALU_DEP_3) | instskip(SKIP_1) | instid1(VALU_DEP_2)
	v_cndmask_b32_e32 v2, v9, v3, vcc_lo
	v_cndmask_b32_e32 v3, v8, v11, vcc_lo
	v_xor_b32_e32 v8, v2, v12
	s_delay_alu instid0(VALU_DEP_2) | instskip(NEXT) | instid1(VALU_DEP_1)
	v_xor_b32_e32 v3, v3, v12
	v_sub_co_u32 v2, vcc_lo, v3, v12
	s_delay_alu instid0(VALU_DEP_3)
	v_sub_co_ci_u32_e32 v3, vcc_lo, v8, v12, vcc_lo
.LBB18_7:
	s_and_not1_saveexec_b32 s2, s9
	s_cbranch_execz .LBB18_9
; %bb.8:
	v_cvt_f32_u32_e32 v2, s3
	s_sub_i32 s4, 0, s3
	s_delay_alu instid0(VALU_DEP_1) | instskip(SKIP_2) | instid1(VALU_DEP_1)
	v_rcp_iflag_f32_e32 v2, v2
	s_waitcnt_depctr 0xfff
	v_mul_f32_e32 v2, 0x4f7ffffe, v2
	v_cvt_u32_f32_e32 v2, v2
	s_delay_alu instid0(VALU_DEP_1) | instskip(NEXT) | instid1(VALU_DEP_1)
	v_mul_lo_u32 v3, s4, v2
	v_mul_hi_u32 v3, v2, v3
	s_delay_alu instid0(VALU_DEP_1) | instskip(NEXT) | instid1(VALU_DEP_1)
	v_add_nc_u32_e32 v2, v2, v3
	v_mul_hi_u32 v2, v6, v2
	s_delay_alu instid0(VALU_DEP_1) | instskip(SKIP_1) | instid1(VALU_DEP_2)
	v_mul_lo_u32 v3, v2, s3
	v_add_nc_u32_e32 v8, 1, v2
	v_sub_nc_u32_e32 v3, v6, v3
	s_delay_alu instid0(VALU_DEP_1) | instskip(SKIP_1) | instid1(VALU_DEP_2)
	v_subrev_nc_u32_e32 v9, s3, v3
	v_cmp_le_u32_e32 vcc_lo, s3, v3
	v_dual_cndmask_b32 v3, v3, v9 :: v_dual_cndmask_b32 v2, v2, v8
	s_delay_alu instid0(VALU_DEP_1) | instskip(NEXT) | instid1(VALU_DEP_2)
	v_cmp_le_u32_e32 vcc_lo, s3, v3
	v_dual_mov_b32 v3, 0 :: v_dual_add_nc_u32 v8, 1, v2
	s_delay_alu instid0(VALU_DEP_1)
	v_cndmask_b32_e32 v2, v2, v8, vcc_lo
.LBB18_9:
	s_or_b32 exec_lo, exec_lo, s2
	s_delay_alu instid0(VALU_DEP_1) | instskip(NEXT) | instid1(VALU_DEP_2)
	v_mul_lo_u32 v11, s8, v2
	v_mul_lo_u32 v12, s3, v3
	v_mad_u64_u32 v[8:9], null, s3, v2, 0
	s_delay_alu instid0(VALU_DEP_1) | instskip(NEXT) | instid1(VALU_DEP_2)
	v_add3_u32 v9, v9, v12, v11
	v_sub_co_u32 v12, vcc_lo, v6, v8
	v_mov_b32_e32 v6, 0
	s_delay_alu instid0(VALU_DEP_3) | instskip(NEXT) | instid1(VALU_DEP_1)
	v_sub_co_ci_u32_e32 v13, vcc_lo, v7, v9, vcc_lo
	v_or_b32_e32 v7, s23, v13
	s_delay_alu instid0(VALU_DEP_1) | instskip(SKIP_1) | instid1(SALU_CYCLE_1)
	v_cmp_ne_u64_e32 vcc_lo, 0, v[6:7]
                                        ; implicit-def: $vgpr6_vgpr7
	s_and_saveexec_b32 s2, vcc_lo
	s_xor_b32 s3, exec_lo, s2
	s_cbranch_execz .LBB18_11
; %bb.10:
	s_ashr_i32 s4, s23, 31
	s_delay_alu instid0(SALU_CYCLE_1) | instskip(SKIP_2) | instid1(SALU_CYCLE_1)
	s_add_u32 s6, s22, s4
	s_mov_b32 s5, s4
	s_addc_u32 s7, s23, s4
	s_xor_b64 s[6:7], s[6:7], s[4:5]
	s_delay_alu instid0(SALU_CYCLE_1) | instskip(SKIP_3) | instid1(VALU_DEP_1)
	v_cvt_f32_u32_e32 v6, s6
	v_cvt_f32_u32_e32 v7, s7
	s_sub_u32 s2, 0, s6
	s_subb_u32 s5, 0, s7
	v_fmamk_f32 v6, v7, 0x4f800000, v6
	s_delay_alu instid0(VALU_DEP_1) | instskip(SKIP_2) | instid1(VALU_DEP_1)
	v_rcp_f32_e32 v6, v6
	s_waitcnt_depctr 0xfff
	v_mul_f32_e32 v6, 0x5f7ffffc, v6
	v_mul_f32_e32 v7, 0x2f800000, v6
	s_delay_alu instid0(VALU_DEP_1) | instskip(NEXT) | instid1(VALU_DEP_1)
	v_trunc_f32_e32 v7, v7
	v_fmamk_f32 v6, v7, 0xcf800000, v6
	v_cvt_u32_f32_e32 v7, v7
	s_delay_alu instid0(VALU_DEP_2) | instskip(NEXT) | instid1(VALU_DEP_2)
	v_cvt_u32_f32_e32 v6, v6
	v_mul_lo_u32 v8, s2, v7
	s_delay_alu instid0(VALU_DEP_2) | instskip(SKIP_1) | instid1(VALU_DEP_2)
	v_mul_hi_u32 v9, s2, v6
	v_mul_lo_u32 v11, s5, v6
	v_add_nc_u32_e32 v8, v9, v8
	v_mul_lo_u32 v9, s2, v6
	s_delay_alu instid0(VALU_DEP_2) | instskip(NEXT) | instid1(VALU_DEP_2)
	v_add_nc_u32_e32 v8, v8, v11
	v_mul_hi_u32 v11, v6, v9
	s_delay_alu instid0(VALU_DEP_2)
	v_mul_lo_u32 v14, v6, v8
	v_mul_hi_u32 v15, v6, v8
	v_mul_hi_u32 v16, v7, v9
	v_mul_lo_u32 v9, v7, v9
	v_mul_hi_u32 v17, v7, v8
	v_mul_lo_u32 v8, v7, v8
	v_add_co_u32 v11, vcc_lo, v11, v14
	v_add_co_ci_u32_e32 v14, vcc_lo, 0, v15, vcc_lo
	s_delay_alu instid0(VALU_DEP_2) | instskip(NEXT) | instid1(VALU_DEP_2)
	v_add_co_u32 v9, vcc_lo, v11, v9
	v_add_co_ci_u32_e32 v9, vcc_lo, v14, v16, vcc_lo
	v_add_co_ci_u32_e32 v11, vcc_lo, 0, v17, vcc_lo
	v_ashrrev_i32_e32 v16, 31, v13
	s_delay_alu instid0(VALU_DEP_3) | instskip(NEXT) | instid1(VALU_DEP_3)
	v_add_co_u32 v8, vcc_lo, v9, v8
	v_add_co_ci_u32_e32 v9, vcc_lo, 0, v11, vcc_lo
	s_delay_alu instid0(VALU_DEP_2) | instskip(NEXT) | instid1(VALU_DEP_2)
	v_add_co_u32 v6, vcc_lo, v6, v8
	v_add_co_ci_u32_e32 v7, vcc_lo, v7, v9, vcc_lo
	s_delay_alu instid0(VALU_DEP_2) | instskip(SKIP_1) | instid1(VALU_DEP_3)
	v_mul_hi_u32 v8, s2, v6
	v_mul_lo_u32 v11, s5, v6
	v_mul_lo_u32 v9, s2, v7
	s_delay_alu instid0(VALU_DEP_1) | instskip(SKIP_1) | instid1(VALU_DEP_2)
	v_add_nc_u32_e32 v8, v8, v9
	v_mul_lo_u32 v9, s2, v6
	v_add_nc_u32_e32 v8, v8, v11
	s_delay_alu instid0(VALU_DEP_2) | instskip(NEXT) | instid1(VALU_DEP_2)
	v_mul_hi_u32 v11, v6, v9
	v_mul_lo_u32 v14, v6, v8
	v_mul_hi_u32 v15, v6, v8
	v_mul_hi_u32 v17, v7, v9
	v_mul_lo_u32 v9, v7, v9
	v_mul_hi_u32 v18, v7, v8
	v_mul_lo_u32 v8, v7, v8
	v_add_co_u32 v11, vcc_lo, v11, v14
	v_add_co_ci_u32_e32 v14, vcc_lo, 0, v15, vcc_lo
	s_delay_alu instid0(VALU_DEP_2) | instskip(NEXT) | instid1(VALU_DEP_2)
	v_add_co_u32 v9, vcc_lo, v11, v9
	v_add_co_ci_u32_e32 v9, vcc_lo, v14, v17, vcc_lo
	v_add_co_ci_u32_e32 v11, vcc_lo, 0, v18, vcc_lo
	v_add_co_u32 v14, vcc_lo, v12, v16
	v_add_co_ci_u32_e32 v15, vcc_lo, v13, v16, vcc_lo
	s_delay_alu instid0(VALU_DEP_4) | instskip(NEXT) | instid1(VALU_DEP_4)
	v_add_co_u32 v8, vcc_lo, v9, v8
	v_add_co_ci_u32_e32 v9, vcc_lo, 0, v11, vcc_lo
	s_delay_alu instid0(VALU_DEP_4) | instskip(NEXT) | instid1(VALU_DEP_3)
	v_xor_b32_e32 v11, v14, v16
	v_add_co_u32 v14, vcc_lo, v6, v8
	s_delay_alu instid0(VALU_DEP_3) | instskip(SKIP_1) | instid1(VALU_DEP_3)
	v_add_co_ci_u32_e32 v17, vcc_lo, v7, v9, vcc_lo
	v_xor_b32_e32 v18, v15, v16
	v_mul_hi_u32 v19, v11, v14
	s_delay_alu instid0(VALU_DEP_3) | instskip(NEXT) | instid1(VALU_DEP_3)
	v_mad_u64_u32 v[6:7], null, v11, v17, 0
	v_mad_u64_u32 v[8:9], null, v18, v14, 0
	;; [unrolled: 1-line block ×3, first 2 shown]
	s_delay_alu instid0(VALU_DEP_3) | instskip(NEXT) | instid1(VALU_DEP_4)
	v_add_co_u32 v6, vcc_lo, v19, v6
	v_add_co_ci_u32_e32 v7, vcc_lo, 0, v7, vcc_lo
	s_delay_alu instid0(VALU_DEP_2) | instskip(NEXT) | instid1(VALU_DEP_2)
	v_add_co_u32 v6, vcc_lo, v6, v8
	v_add_co_ci_u32_e32 v6, vcc_lo, v7, v9, vcc_lo
	v_add_co_ci_u32_e32 v7, vcc_lo, 0, v15, vcc_lo
	s_delay_alu instid0(VALU_DEP_2) | instskip(NEXT) | instid1(VALU_DEP_2)
	v_add_co_u32 v8, vcc_lo, v6, v14
	v_add_co_ci_u32_e32 v9, vcc_lo, 0, v7, vcc_lo
	s_delay_alu instid0(VALU_DEP_2) | instskip(SKIP_1) | instid1(VALU_DEP_3)
	v_mul_lo_u32 v14, s7, v8
	v_mad_u64_u32 v[6:7], null, s6, v8, 0
	v_mul_lo_u32 v15, s6, v9
	s_delay_alu instid0(VALU_DEP_2) | instskip(NEXT) | instid1(VALU_DEP_2)
	v_sub_co_u32 v6, vcc_lo, v11, v6
	v_add3_u32 v7, v7, v15, v14
	s_delay_alu instid0(VALU_DEP_1) | instskip(NEXT) | instid1(VALU_DEP_1)
	v_sub_nc_u32_e32 v14, v18, v7
	v_subrev_co_ci_u32_e64 v11, s2, s7, v14, vcc_lo
	v_add_co_u32 v14, s2, v8, 2
	s_delay_alu instid0(VALU_DEP_1) | instskip(SKIP_3) | instid1(VALU_DEP_3)
	v_add_co_ci_u32_e64 v15, s2, 0, v9, s2
	v_sub_co_u32 v17, s2, v6, s6
	v_sub_co_ci_u32_e32 v7, vcc_lo, v18, v7, vcc_lo
	v_subrev_co_ci_u32_e64 v11, s2, 0, v11, s2
	v_cmp_le_u32_e32 vcc_lo, s6, v17
	s_delay_alu instid0(VALU_DEP_3) | instskip(SKIP_1) | instid1(VALU_DEP_4)
	v_cmp_eq_u32_e64 s2, s7, v7
	v_cndmask_b32_e64 v17, 0, -1, vcc_lo
	v_cmp_le_u32_e32 vcc_lo, s7, v11
	v_cndmask_b32_e64 v18, 0, -1, vcc_lo
	v_cmp_le_u32_e32 vcc_lo, s6, v6
	;; [unrolled: 2-line block ×3, first 2 shown]
	v_cndmask_b32_e64 v19, 0, -1, vcc_lo
	v_cmp_eq_u32_e32 vcc_lo, s7, v11
	s_delay_alu instid0(VALU_DEP_2) | instskip(SKIP_3) | instid1(VALU_DEP_3)
	v_cndmask_b32_e64 v6, v19, v6, s2
	v_cndmask_b32_e32 v11, v18, v17, vcc_lo
	v_add_co_u32 v17, vcc_lo, v8, 1
	v_add_co_ci_u32_e32 v18, vcc_lo, 0, v9, vcc_lo
	v_cmp_ne_u32_e32 vcc_lo, 0, v11
	s_delay_alu instid0(VALU_DEP_3) | instskip(NEXT) | instid1(VALU_DEP_3)
	v_cndmask_b32_e32 v11, v17, v14, vcc_lo
	v_cndmask_b32_e32 v7, v18, v15, vcc_lo
	v_cmp_ne_u32_e32 vcc_lo, 0, v6
	v_xor_b32_e32 v14, s4, v16
	s_delay_alu instid0(VALU_DEP_3) | instskip(SKIP_1) | instid1(VALU_DEP_2)
	v_cndmask_b32_e32 v6, v9, v7, vcc_lo
	v_cndmask_b32_e32 v7, v8, v11, vcc_lo
	v_xor_b32_e32 v8, v6, v14
	s_delay_alu instid0(VALU_DEP_2) | instskip(NEXT) | instid1(VALU_DEP_1)
	v_xor_b32_e32 v7, v7, v14
	v_sub_co_u32 v6, vcc_lo, v7, v14
	s_delay_alu instid0(VALU_DEP_3)
	v_sub_co_ci_u32_e32 v7, vcc_lo, v8, v14, vcc_lo
.LBB18_11:
	s_and_not1_saveexec_b32 s2, s3
	s_cbranch_execz .LBB18_13
; %bb.12:
	v_cvt_f32_u32_e32 v6, s22
	s_sub_i32 s3, 0, s22
	s_delay_alu instid0(VALU_DEP_1) | instskip(SKIP_2) | instid1(VALU_DEP_1)
	v_rcp_iflag_f32_e32 v6, v6
	s_waitcnt_depctr 0xfff
	v_mul_f32_e32 v6, 0x4f7ffffe, v6
	v_cvt_u32_f32_e32 v6, v6
	s_delay_alu instid0(VALU_DEP_1) | instskip(NEXT) | instid1(VALU_DEP_1)
	v_mul_lo_u32 v7, s3, v6
	v_mul_hi_u32 v7, v6, v7
	s_delay_alu instid0(VALU_DEP_1) | instskip(NEXT) | instid1(VALU_DEP_1)
	v_add_nc_u32_e32 v6, v6, v7
	v_mul_hi_u32 v6, v12, v6
	s_delay_alu instid0(VALU_DEP_1) | instskip(SKIP_1) | instid1(VALU_DEP_2)
	v_mul_lo_u32 v7, v6, s22
	v_add_nc_u32_e32 v8, 1, v6
	v_sub_nc_u32_e32 v7, v12, v7
	s_delay_alu instid0(VALU_DEP_1) | instskip(SKIP_1) | instid1(VALU_DEP_2)
	v_subrev_nc_u32_e32 v9, s22, v7
	v_cmp_le_u32_e32 vcc_lo, s22, v7
	v_dual_cndmask_b32 v7, v7, v9 :: v_dual_cndmask_b32 v6, v6, v8
	s_delay_alu instid0(VALU_DEP_1) | instskip(NEXT) | instid1(VALU_DEP_2)
	v_cmp_le_u32_e32 vcc_lo, s22, v7
	v_dual_mov_b32 v7, 0 :: v_dual_add_nc_u32 v8, 1, v6
	s_delay_alu instid0(VALU_DEP_1)
	v_cndmask_b32_e32 v6, v6, v8, vcc_lo
.LBB18_13:
	s_or_b32 exec_lo, exec_lo, s2
	s_load_b512 s[36:51], s[0:1], 0x40
	v_mov_b32_e32 v8, 0
	s_waitcnt lgkmcnt(0)
	s_mul_i32 s2, s42, s41
	s_mul_hi_u32 s4, s42, s40
	s_mul_i32 s5, s43, s40
	s_mul_i32 s3, s42, s40
	s_add_i32 s8, s4, s2
	s_mul_i32 s2, s3, s45
	s_mul_hi_u32 s4, s3, s44
	s_add_i32 s8, s8, s5
	s_add_i32 s2, s4, s2
	s_mul_i32 s4, s8, s44
	s_mul_i32 s10, s3, s44
	s_add_i32 s9, s2, s4
	s_delay_alu instid0(SALU_CYCLE_1) | instskip(NEXT) | instid1(VALU_DEP_1)
	v_or_b32_e32 v9, s9, v5
	v_cmp_ne_u64_e32 vcc_lo, 0, v[8:9]
                                        ; implicit-def: $vgpr8_vgpr9
	s_and_saveexec_b32 s2, vcc_lo
	s_delay_alu instid0(SALU_CYCLE_1)
	s_xor_b32 s11, exec_lo, s2
	s_cbranch_execz .LBB18_15
; %bb.14:
	s_ashr_i32 s4, s9, 31
	s_delay_alu instid0(SALU_CYCLE_1) | instskip(SKIP_2) | instid1(SALU_CYCLE_1)
	s_add_u32 s6, s10, s4
	s_mov_b32 s5, s4
	s_addc_u32 s7, s9, s4
	s_xor_b64 s[6:7], s[6:7], s[4:5]
	s_delay_alu instid0(SALU_CYCLE_1) | instskip(SKIP_3) | instid1(VALU_DEP_1)
	v_cvt_f32_u32_e32 v8, s6
	v_cvt_f32_u32_e32 v9, s7
	s_sub_u32 s2, 0, s6
	s_subb_u32 s5, 0, s7
	v_fmamk_f32 v8, v9, 0x4f800000, v8
	s_delay_alu instid0(VALU_DEP_1) | instskip(SKIP_2) | instid1(VALU_DEP_1)
	v_rcp_f32_e32 v8, v8
	s_waitcnt_depctr 0xfff
	v_mul_f32_e32 v8, 0x5f7ffffc, v8
	v_mul_f32_e32 v9, 0x2f800000, v8
	s_delay_alu instid0(VALU_DEP_1) | instskip(NEXT) | instid1(VALU_DEP_1)
	v_trunc_f32_e32 v9, v9
	v_fmamk_f32 v8, v9, 0xcf800000, v8
	v_cvt_u32_f32_e32 v9, v9
	s_delay_alu instid0(VALU_DEP_2) | instskip(NEXT) | instid1(VALU_DEP_2)
	v_cvt_u32_f32_e32 v8, v8
	v_mul_lo_u32 v11, s2, v9
	s_delay_alu instid0(VALU_DEP_2) | instskip(SKIP_1) | instid1(VALU_DEP_2)
	v_mul_hi_u32 v14, s2, v8
	v_mul_lo_u32 v15, s5, v8
	v_add_nc_u32_e32 v11, v14, v11
	v_mul_lo_u32 v14, s2, v8
	s_delay_alu instid0(VALU_DEP_2) | instskip(NEXT) | instid1(VALU_DEP_2)
	v_add_nc_u32_e32 v11, v11, v15
	v_mul_hi_u32 v15, v8, v14
	s_delay_alu instid0(VALU_DEP_2)
	v_mul_lo_u32 v16, v8, v11
	v_mul_hi_u32 v17, v8, v11
	v_mul_hi_u32 v18, v9, v14
	v_mul_lo_u32 v14, v9, v14
	v_mul_hi_u32 v19, v9, v11
	v_mul_lo_u32 v11, v9, v11
	v_add_co_u32 v15, vcc_lo, v15, v16
	v_add_co_ci_u32_e32 v16, vcc_lo, 0, v17, vcc_lo
	s_delay_alu instid0(VALU_DEP_2) | instskip(NEXT) | instid1(VALU_DEP_2)
	v_add_co_u32 v14, vcc_lo, v15, v14
	v_add_co_ci_u32_e32 v14, vcc_lo, v16, v18, vcc_lo
	v_add_co_ci_u32_e32 v15, vcc_lo, 0, v19, vcc_lo
	s_delay_alu instid0(VALU_DEP_2) | instskip(NEXT) | instid1(VALU_DEP_2)
	v_add_co_u32 v11, vcc_lo, v14, v11
	v_add_co_ci_u32_e32 v14, vcc_lo, 0, v15, vcc_lo
	s_delay_alu instid0(VALU_DEP_2) | instskip(NEXT) | instid1(VALU_DEP_2)
	v_add_co_u32 v8, vcc_lo, v8, v11
	v_add_co_ci_u32_e32 v9, vcc_lo, v9, v14, vcc_lo
	s_delay_alu instid0(VALU_DEP_2) | instskip(SKIP_1) | instid1(VALU_DEP_3)
	v_mul_hi_u32 v11, s2, v8
	v_mul_lo_u32 v15, s5, v8
	v_mul_lo_u32 v14, s2, v9
	s_delay_alu instid0(VALU_DEP_1) | instskip(SKIP_1) | instid1(VALU_DEP_2)
	v_add_nc_u32_e32 v11, v11, v14
	v_mul_lo_u32 v14, s2, v8
	v_add_nc_u32_e32 v11, v11, v15
	s_delay_alu instid0(VALU_DEP_2) | instskip(NEXT) | instid1(VALU_DEP_2)
	v_mul_hi_u32 v15, v8, v14
	v_mul_lo_u32 v16, v8, v11
	v_mul_hi_u32 v17, v8, v11
	v_mul_hi_u32 v18, v9, v14
	v_mul_lo_u32 v14, v9, v14
	v_mul_hi_u32 v19, v9, v11
	v_mul_lo_u32 v11, v9, v11
	v_add_co_u32 v15, vcc_lo, v15, v16
	v_add_co_ci_u32_e32 v16, vcc_lo, 0, v17, vcc_lo
	s_delay_alu instid0(VALU_DEP_2) | instskip(NEXT) | instid1(VALU_DEP_2)
	v_add_co_u32 v14, vcc_lo, v15, v14
	v_add_co_ci_u32_e32 v14, vcc_lo, v16, v18, vcc_lo
	v_add_co_ci_u32_e32 v15, vcc_lo, 0, v19, vcc_lo
	v_add_co_u32 v16, vcc_lo, v4, v10
	v_add_co_ci_u32_e32 v17, vcc_lo, v5, v10, vcc_lo
	s_delay_alu instid0(VALU_DEP_4) | instskip(NEXT) | instid1(VALU_DEP_4)
	v_add_co_u32 v11, vcc_lo, v14, v11
	v_add_co_ci_u32_e32 v14, vcc_lo, 0, v15, vcc_lo
	s_delay_alu instid0(VALU_DEP_4) | instskip(NEXT) | instid1(VALU_DEP_3)
	v_xor_b32_e32 v18, v16, v10
	v_add_co_u32 v11, vcc_lo, v8, v11
	s_delay_alu instid0(VALU_DEP_3) | instskip(SKIP_1) | instid1(VALU_DEP_3)
	v_add_co_ci_u32_e32 v19, vcc_lo, v9, v14, vcc_lo
	v_xor_b32_e32 v20, v17, v10
	v_mul_hi_u32 v21, v18, v11
	v_xor_b32_e32 v10, s4, v10
	s_delay_alu instid0(VALU_DEP_4) | instskip(NEXT) | instid1(VALU_DEP_4)
	v_mad_u64_u32 v[8:9], null, v18, v19, 0
	v_mad_u64_u32 v[14:15], null, v20, v11, 0
	;; [unrolled: 1-line block ×3, first 2 shown]
	s_delay_alu instid0(VALU_DEP_3) | instskip(NEXT) | instid1(VALU_DEP_4)
	v_add_co_u32 v8, vcc_lo, v21, v8
	v_add_co_ci_u32_e32 v9, vcc_lo, 0, v9, vcc_lo
	s_delay_alu instid0(VALU_DEP_2) | instskip(NEXT) | instid1(VALU_DEP_2)
	v_add_co_u32 v8, vcc_lo, v8, v14
	v_add_co_ci_u32_e32 v8, vcc_lo, v9, v15, vcc_lo
	v_add_co_ci_u32_e32 v9, vcc_lo, 0, v17, vcc_lo
	s_delay_alu instid0(VALU_DEP_2) | instskip(NEXT) | instid1(VALU_DEP_2)
	v_add_co_u32 v11, vcc_lo, v8, v16
	v_add_co_ci_u32_e32 v14, vcc_lo, 0, v9, vcc_lo
	s_delay_alu instid0(VALU_DEP_2) | instskip(SKIP_1) | instid1(VALU_DEP_3)
	v_mul_lo_u32 v15, s7, v11
	v_mad_u64_u32 v[8:9], null, s6, v11, 0
	v_mul_lo_u32 v16, s6, v14
	s_delay_alu instid0(VALU_DEP_2) | instskip(NEXT) | instid1(VALU_DEP_2)
	v_sub_co_u32 v8, vcc_lo, v18, v8
	v_add3_u32 v9, v9, v16, v15
	s_delay_alu instid0(VALU_DEP_1) | instskip(NEXT) | instid1(VALU_DEP_1)
	v_sub_nc_u32_e32 v15, v20, v9
	v_subrev_co_ci_u32_e64 v15, s2, s7, v15, vcc_lo
	v_add_co_u32 v16, s2, v11, 2
	s_delay_alu instid0(VALU_DEP_1) | instskip(SKIP_3) | instid1(VALU_DEP_3)
	v_add_co_ci_u32_e64 v17, s2, 0, v14, s2
	v_sub_co_u32 v18, s2, v8, s6
	v_sub_co_ci_u32_e32 v9, vcc_lo, v20, v9, vcc_lo
	v_subrev_co_ci_u32_e64 v15, s2, 0, v15, s2
	v_cmp_le_u32_e32 vcc_lo, s6, v18
	s_delay_alu instid0(VALU_DEP_3) | instskip(SKIP_1) | instid1(VALU_DEP_4)
	v_cmp_eq_u32_e64 s2, s7, v9
	v_cndmask_b32_e64 v18, 0, -1, vcc_lo
	v_cmp_le_u32_e32 vcc_lo, s7, v15
	v_cndmask_b32_e64 v19, 0, -1, vcc_lo
	v_cmp_le_u32_e32 vcc_lo, s6, v8
	;; [unrolled: 2-line block ×3, first 2 shown]
	v_cndmask_b32_e64 v20, 0, -1, vcc_lo
	v_cmp_eq_u32_e32 vcc_lo, s7, v15
	s_delay_alu instid0(VALU_DEP_2) | instskip(SKIP_3) | instid1(VALU_DEP_3)
	v_cndmask_b32_e64 v8, v20, v8, s2
	v_cndmask_b32_e32 v15, v19, v18, vcc_lo
	v_add_co_u32 v18, vcc_lo, v11, 1
	v_add_co_ci_u32_e32 v19, vcc_lo, 0, v14, vcc_lo
	v_cmp_ne_u32_e32 vcc_lo, 0, v15
	s_delay_alu instid0(VALU_DEP_2) | instskip(NEXT) | instid1(VALU_DEP_4)
	v_cndmask_b32_e32 v9, v19, v17, vcc_lo
	v_cndmask_b32_e32 v15, v18, v16, vcc_lo
	v_cmp_ne_u32_e32 vcc_lo, 0, v8
	s_delay_alu instid0(VALU_DEP_2) | instskip(NEXT) | instid1(VALU_DEP_1)
	v_dual_cndmask_b32 v8, v14, v9 :: v_dual_cndmask_b32 v9, v11, v15
	v_xor_b32_e32 v11, v8, v10
	s_delay_alu instid0(VALU_DEP_2) | instskip(NEXT) | instid1(VALU_DEP_1)
	v_xor_b32_e32 v9, v9, v10
	v_sub_co_u32 v8, vcc_lo, v9, v10
	s_delay_alu instid0(VALU_DEP_3)
	v_sub_co_ci_u32_e32 v9, vcc_lo, v11, v10, vcc_lo
.LBB18_15:
	s_and_not1_saveexec_b32 s2, s11
	s_cbranch_execz .LBB18_17
; %bb.16:
	v_cvt_f32_u32_e32 v8, s10
	s_sub_i32 s4, 0, s10
	s_delay_alu instid0(VALU_DEP_1) | instskip(SKIP_2) | instid1(VALU_DEP_1)
	v_rcp_iflag_f32_e32 v8, v8
	s_waitcnt_depctr 0xfff
	v_mul_f32_e32 v8, 0x4f7ffffe, v8
	v_cvt_u32_f32_e32 v8, v8
	s_delay_alu instid0(VALU_DEP_1) | instskip(NEXT) | instid1(VALU_DEP_1)
	v_mul_lo_u32 v9, s4, v8
	v_mul_hi_u32 v9, v8, v9
	s_delay_alu instid0(VALU_DEP_1) | instskip(NEXT) | instid1(VALU_DEP_1)
	v_add_nc_u32_e32 v8, v8, v9
	v_mul_hi_u32 v8, v4, v8
	s_delay_alu instid0(VALU_DEP_1) | instskip(SKIP_1) | instid1(VALU_DEP_2)
	v_mul_lo_u32 v9, v8, s10
	v_add_nc_u32_e32 v10, 1, v8
	v_sub_nc_u32_e32 v9, v4, v9
	s_delay_alu instid0(VALU_DEP_1) | instskip(SKIP_1) | instid1(VALU_DEP_2)
	v_subrev_nc_u32_e32 v11, s10, v9
	v_cmp_le_u32_e32 vcc_lo, s10, v9
	v_dual_cndmask_b32 v9, v9, v11 :: v_dual_cndmask_b32 v8, v8, v10
	s_delay_alu instid0(VALU_DEP_1) | instskip(NEXT) | instid1(VALU_DEP_2)
	v_cmp_le_u32_e32 vcc_lo, s10, v9
	v_dual_mov_b32 v9, 0 :: v_dual_add_nc_u32 v10, 1, v8
	s_delay_alu instid0(VALU_DEP_1)
	v_cndmask_b32_e32 v8, v8, v10, vcc_lo
.LBB18_17:
	s_or_b32 exec_lo, exec_lo, s2
	s_delay_alu instid0(VALU_DEP_1) | instskip(NEXT) | instid1(VALU_DEP_2)
	v_mul_lo_u32 v14, s9, v8
	v_mul_lo_u32 v15, s10, v9
	v_mad_u64_u32 v[10:11], null, s10, v8, 0
	s_delay_alu instid0(VALU_DEP_1) | instskip(NEXT) | instid1(VALU_DEP_2)
	v_add3_u32 v11, v11, v15, v14
	v_sub_co_u32 v10, vcc_lo, v4, v10
	v_mov_b32_e32 v4, 0
	s_delay_alu instid0(VALU_DEP_3) | instskip(NEXT) | instid1(VALU_DEP_1)
	v_sub_co_ci_u32_e32 v11, vcc_lo, v5, v11, vcc_lo
	v_or_b32_e32 v5, s8, v11
	s_delay_alu instid0(VALU_DEP_1) | instskip(SKIP_1) | instid1(SALU_CYCLE_1)
	v_cmp_ne_u64_e32 vcc_lo, 0, v[4:5]
                                        ; implicit-def: $vgpr4_vgpr5
	s_and_saveexec_b32 s2, vcc_lo
	s_xor_b32 s9, exec_lo, s2
	s_cbranch_execz .LBB18_19
; %bb.18:
	s_ashr_i32 s4, s8, 31
	s_delay_alu instid0(SALU_CYCLE_1) | instskip(SKIP_2) | instid1(SALU_CYCLE_1)
	s_add_u32 s6, s3, s4
	s_mov_b32 s5, s4
	s_addc_u32 s7, s8, s4
	s_xor_b64 s[6:7], s[6:7], s[4:5]
	s_delay_alu instid0(SALU_CYCLE_1) | instskip(SKIP_3) | instid1(VALU_DEP_1)
	v_cvt_f32_u32_e32 v4, s6
	v_cvt_f32_u32_e32 v5, s7
	s_sub_u32 s2, 0, s6
	s_subb_u32 s5, 0, s7
	v_fmamk_f32 v4, v5, 0x4f800000, v4
	s_delay_alu instid0(VALU_DEP_1) | instskip(SKIP_2) | instid1(VALU_DEP_1)
	v_rcp_f32_e32 v4, v4
	s_waitcnt_depctr 0xfff
	v_mul_f32_e32 v4, 0x5f7ffffc, v4
	v_mul_f32_e32 v5, 0x2f800000, v4
	s_delay_alu instid0(VALU_DEP_1) | instskip(NEXT) | instid1(VALU_DEP_1)
	v_trunc_f32_e32 v5, v5
	v_fmamk_f32 v4, v5, 0xcf800000, v4
	v_cvt_u32_f32_e32 v5, v5
	s_delay_alu instid0(VALU_DEP_2) | instskip(NEXT) | instid1(VALU_DEP_2)
	v_cvt_u32_f32_e32 v4, v4
	v_mul_lo_u32 v14, s2, v5
	s_delay_alu instid0(VALU_DEP_2) | instskip(SKIP_1) | instid1(VALU_DEP_2)
	v_mul_hi_u32 v15, s2, v4
	v_mul_lo_u32 v16, s5, v4
	v_add_nc_u32_e32 v14, v15, v14
	v_mul_lo_u32 v15, s2, v4
	s_delay_alu instid0(VALU_DEP_2) | instskip(NEXT) | instid1(VALU_DEP_2)
	v_add_nc_u32_e32 v14, v14, v16
	v_mul_hi_u32 v16, v4, v15
	s_delay_alu instid0(VALU_DEP_2)
	v_mul_lo_u32 v17, v4, v14
	v_mul_hi_u32 v18, v4, v14
	v_mul_hi_u32 v19, v5, v15
	v_mul_lo_u32 v15, v5, v15
	v_mul_hi_u32 v20, v5, v14
	v_mul_lo_u32 v14, v5, v14
	v_add_co_u32 v16, vcc_lo, v16, v17
	v_add_co_ci_u32_e32 v17, vcc_lo, 0, v18, vcc_lo
	s_delay_alu instid0(VALU_DEP_2) | instskip(NEXT) | instid1(VALU_DEP_2)
	v_add_co_u32 v15, vcc_lo, v16, v15
	v_add_co_ci_u32_e32 v15, vcc_lo, v17, v19, vcc_lo
	v_add_co_ci_u32_e32 v16, vcc_lo, 0, v20, vcc_lo
	v_ashrrev_i32_e32 v19, 31, v11
	s_delay_alu instid0(VALU_DEP_3) | instskip(NEXT) | instid1(VALU_DEP_3)
	v_add_co_u32 v14, vcc_lo, v15, v14
	v_add_co_ci_u32_e32 v15, vcc_lo, 0, v16, vcc_lo
	s_delay_alu instid0(VALU_DEP_2) | instskip(NEXT) | instid1(VALU_DEP_2)
	v_add_co_u32 v4, vcc_lo, v4, v14
	v_add_co_ci_u32_e32 v5, vcc_lo, v5, v15, vcc_lo
	s_delay_alu instid0(VALU_DEP_2) | instskip(SKIP_1) | instid1(VALU_DEP_3)
	v_mul_hi_u32 v14, s2, v4
	v_mul_lo_u32 v16, s5, v4
	v_mul_lo_u32 v15, s2, v5
	s_delay_alu instid0(VALU_DEP_1) | instskip(SKIP_1) | instid1(VALU_DEP_2)
	v_add_nc_u32_e32 v14, v14, v15
	v_mul_lo_u32 v15, s2, v4
	v_add_nc_u32_e32 v14, v14, v16
	s_delay_alu instid0(VALU_DEP_2) | instskip(NEXT) | instid1(VALU_DEP_2)
	v_mul_hi_u32 v16, v4, v15
	v_mul_lo_u32 v17, v4, v14
	v_mul_hi_u32 v18, v4, v14
	v_mul_hi_u32 v20, v5, v15
	v_mul_lo_u32 v15, v5, v15
	v_mul_hi_u32 v21, v5, v14
	v_mul_lo_u32 v14, v5, v14
	v_add_co_u32 v16, vcc_lo, v16, v17
	v_add_co_ci_u32_e32 v17, vcc_lo, 0, v18, vcc_lo
	s_delay_alu instid0(VALU_DEP_2) | instskip(NEXT) | instid1(VALU_DEP_2)
	v_add_co_u32 v15, vcc_lo, v16, v15
	v_add_co_ci_u32_e32 v15, vcc_lo, v17, v20, vcc_lo
	v_add_co_ci_u32_e32 v16, vcc_lo, 0, v21, vcc_lo
	v_add_co_u32 v17, vcc_lo, v10, v19
	v_add_co_ci_u32_e32 v18, vcc_lo, v11, v19, vcc_lo
	s_delay_alu instid0(VALU_DEP_4) | instskip(NEXT) | instid1(VALU_DEP_4)
	v_add_co_u32 v14, vcc_lo, v15, v14
	v_add_co_ci_u32_e32 v15, vcc_lo, 0, v16, vcc_lo
	s_delay_alu instid0(VALU_DEP_4) | instskip(NEXT) | instid1(VALU_DEP_3)
	v_xor_b32_e32 v20, v17, v19
	v_add_co_u32 v16, vcc_lo, v4, v14
	s_delay_alu instid0(VALU_DEP_3) | instskip(SKIP_1) | instid1(VALU_DEP_3)
	v_add_co_ci_u32_e32 v21, vcc_lo, v5, v15, vcc_lo
	v_xor_b32_e32 v18, v18, v19
	v_mul_hi_u32 v22, v20, v16
	s_delay_alu instid0(VALU_DEP_3) | instskip(NEXT) | instid1(VALU_DEP_3)
	v_mad_u64_u32 v[4:5], null, v20, v21, 0
	v_mad_u64_u32 v[14:15], null, v18, v16, 0
	;; [unrolled: 1-line block ×3, first 2 shown]
	s_delay_alu instid0(VALU_DEP_3) | instskip(NEXT) | instid1(VALU_DEP_4)
	v_add_co_u32 v4, vcc_lo, v22, v4
	v_add_co_ci_u32_e32 v5, vcc_lo, 0, v5, vcc_lo
	s_delay_alu instid0(VALU_DEP_2) | instskip(NEXT) | instid1(VALU_DEP_2)
	v_add_co_u32 v4, vcc_lo, v4, v14
	v_add_co_ci_u32_e32 v4, vcc_lo, v5, v15, vcc_lo
	v_add_co_ci_u32_e32 v5, vcc_lo, 0, v17, vcc_lo
	s_delay_alu instid0(VALU_DEP_2) | instskip(NEXT) | instid1(VALU_DEP_2)
	v_add_co_u32 v14, vcc_lo, v4, v16
	v_add_co_ci_u32_e32 v15, vcc_lo, 0, v5, vcc_lo
	s_delay_alu instid0(VALU_DEP_2) | instskip(SKIP_1) | instid1(VALU_DEP_3)
	v_mul_lo_u32 v16, s7, v14
	v_mad_u64_u32 v[4:5], null, s6, v14, 0
	v_mul_lo_u32 v17, s6, v15
	s_delay_alu instid0(VALU_DEP_2) | instskip(NEXT) | instid1(VALU_DEP_2)
	v_sub_co_u32 v4, vcc_lo, v20, v4
	v_add3_u32 v5, v5, v17, v16
	s_delay_alu instid0(VALU_DEP_1) | instskip(NEXT) | instid1(VALU_DEP_1)
	v_sub_nc_u32_e32 v16, v18, v5
	v_subrev_co_ci_u32_e64 v16, s2, s7, v16, vcc_lo
	v_add_co_u32 v17, s2, v14, 2
	s_delay_alu instid0(VALU_DEP_1) | instskip(SKIP_3) | instid1(VALU_DEP_3)
	v_add_co_ci_u32_e64 v20, s2, 0, v15, s2
	v_sub_co_u32 v21, s2, v4, s6
	v_sub_co_ci_u32_e32 v5, vcc_lo, v18, v5, vcc_lo
	v_subrev_co_ci_u32_e64 v16, s2, 0, v16, s2
	v_cmp_le_u32_e32 vcc_lo, s6, v21
	s_delay_alu instid0(VALU_DEP_3) | instskip(SKIP_1) | instid1(VALU_DEP_4)
	v_cmp_eq_u32_e64 s2, s7, v5
	v_cndmask_b32_e64 v18, 0, -1, vcc_lo
	v_cmp_le_u32_e32 vcc_lo, s7, v16
	v_cndmask_b32_e64 v21, 0, -1, vcc_lo
	v_cmp_le_u32_e32 vcc_lo, s6, v4
	;; [unrolled: 2-line block ×3, first 2 shown]
	v_cndmask_b32_e64 v22, 0, -1, vcc_lo
	v_cmp_eq_u32_e32 vcc_lo, s7, v16
	s_delay_alu instid0(VALU_DEP_2) | instskip(SKIP_3) | instid1(VALU_DEP_3)
	v_cndmask_b32_e64 v4, v22, v4, s2
	v_cndmask_b32_e32 v16, v21, v18, vcc_lo
	v_add_co_u32 v18, vcc_lo, v14, 1
	v_add_co_ci_u32_e32 v21, vcc_lo, 0, v15, vcc_lo
	v_cmp_ne_u32_e32 vcc_lo, 0, v16
	s_delay_alu instid0(VALU_DEP_2) | instskip(SKIP_2) | instid1(VALU_DEP_3)
	v_dual_cndmask_b32 v5, v21, v20 :: v_dual_cndmask_b32 v16, v18, v17
	v_cmp_ne_u32_e32 vcc_lo, 0, v4
	v_xor_b32_e32 v17, s4, v19
	v_dual_cndmask_b32 v4, v15, v5 :: v_dual_cndmask_b32 v5, v14, v16
	s_delay_alu instid0(VALU_DEP_1) | instskip(NEXT) | instid1(VALU_DEP_2)
	v_xor_b32_e32 v14, v4, v17
	v_xor_b32_e32 v5, v5, v17
	s_delay_alu instid0(VALU_DEP_1) | instskip(NEXT) | instid1(VALU_DEP_3)
	v_sub_co_u32 v4, vcc_lo, v5, v17
	v_sub_co_ci_u32_e32 v5, vcc_lo, v14, v17, vcc_lo
.LBB18_19:
	s_and_not1_saveexec_b32 s2, s9
	s_cbranch_execz .LBB18_21
; %bb.20:
	v_cvt_f32_u32_e32 v4, s3
	s_sub_i32 s4, 0, s3
	s_delay_alu instid0(VALU_DEP_1) | instskip(SKIP_2) | instid1(VALU_DEP_1)
	v_rcp_iflag_f32_e32 v4, v4
	s_waitcnt_depctr 0xfff
	v_mul_f32_e32 v4, 0x4f7ffffe, v4
	v_cvt_u32_f32_e32 v4, v4
	s_delay_alu instid0(VALU_DEP_1) | instskip(NEXT) | instid1(VALU_DEP_1)
	v_mul_lo_u32 v5, s4, v4
	v_mul_hi_u32 v5, v4, v5
	s_delay_alu instid0(VALU_DEP_1) | instskip(NEXT) | instid1(VALU_DEP_1)
	v_add_nc_u32_e32 v4, v4, v5
	v_mul_hi_u32 v4, v10, v4
	s_delay_alu instid0(VALU_DEP_1) | instskip(SKIP_1) | instid1(VALU_DEP_2)
	v_mul_lo_u32 v5, v4, s3
	v_add_nc_u32_e32 v14, 1, v4
	v_sub_nc_u32_e32 v5, v10, v5
	s_delay_alu instid0(VALU_DEP_1) | instskip(SKIP_1) | instid1(VALU_DEP_2)
	v_subrev_nc_u32_e32 v15, s3, v5
	v_cmp_le_u32_e32 vcc_lo, s3, v5
	v_dual_cndmask_b32 v5, v5, v15 :: v_dual_cndmask_b32 v4, v4, v14
	s_delay_alu instid0(VALU_DEP_1) | instskip(NEXT) | instid1(VALU_DEP_2)
	v_cmp_le_u32_e32 vcc_lo, s3, v5
	v_dual_mov_b32 v5, 0 :: v_dual_add_nc_u32 v14, 1, v4
	s_delay_alu instid0(VALU_DEP_1)
	v_cndmask_b32_e32 v4, v4, v14, vcc_lo
.LBB18_21:
	s_or_b32 exec_lo, exec_lo, s2
	s_delay_alu instid0(VALU_DEP_1) | instskip(NEXT) | instid1(VALU_DEP_2)
	v_mul_lo_u32 v16, s8, v4
	v_mul_lo_u32 v17, s3, v5
	v_mad_u64_u32 v[14:15], null, s3, v4, 0
	s_delay_alu instid0(VALU_DEP_1) | instskip(NEXT) | instid1(VALU_DEP_2)
	v_add3_u32 v15, v15, v17, v16
	v_sub_co_u32 v14, vcc_lo, v10, v14
	v_mov_b32_e32 v10, 0
	s_delay_alu instid0(VALU_DEP_3) | instskip(NEXT) | instid1(VALU_DEP_1)
	v_sub_co_ci_u32_e32 v15, vcc_lo, v11, v15, vcc_lo
	v_or_b32_e32 v11, s41, v15
	s_delay_alu instid0(VALU_DEP_1) | instskip(SKIP_1) | instid1(SALU_CYCLE_1)
	v_cmp_ne_u64_e32 vcc_lo, 0, v[10:11]
                                        ; implicit-def: $vgpr10_vgpr11
	s_and_saveexec_b32 s2, vcc_lo
	s_xor_b32 s3, exec_lo, s2
	s_cbranch_execz .LBB18_23
; %bb.22:
	s_ashr_i32 s4, s41, 31
	s_delay_alu instid0(SALU_CYCLE_1) | instskip(SKIP_2) | instid1(SALU_CYCLE_1)
	s_add_u32 s6, s40, s4
	s_mov_b32 s5, s4
	s_addc_u32 s7, s41, s4
	s_xor_b64 s[6:7], s[6:7], s[4:5]
	s_delay_alu instid0(SALU_CYCLE_1) | instskip(SKIP_3) | instid1(VALU_DEP_1)
	v_cvt_f32_u32_e32 v10, s6
	v_cvt_f32_u32_e32 v11, s7
	s_sub_u32 s2, 0, s6
	s_subb_u32 s5, 0, s7
	v_fmamk_f32 v10, v11, 0x4f800000, v10
	s_delay_alu instid0(VALU_DEP_1) | instskip(SKIP_2) | instid1(VALU_DEP_1)
	v_rcp_f32_e32 v10, v10
	s_waitcnt_depctr 0xfff
	v_mul_f32_e32 v10, 0x5f7ffffc, v10
	v_mul_f32_e32 v11, 0x2f800000, v10
	s_delay_alu instid0(VALU_DEP_1) | instskip(NEXT) | instid1(VALU_DEP_1)
	v_trunc_f32_e32 v11, v11
	v_fmamk_f32 v10, v11, 0xcf800000, v10
	v_cvt_u32_f32_e32 v11, v11
	s_delay_alu instid0(VALU_DEP_2) | instskip(NEXT) | instid1(VALU_DEP_2)
	v_cvt_u32_f32_e32 v10, v10
	v_mul_lo_u32 v16, s2, v11
	s_delay_alu instid0(VALU_DEP_2) | instskip(SKIP_1) | instid1(VALU_DEP_2)
	v_mul_hi_u32 v17, s2, v10
	v_mul_lo_u32 v18, s5, v10
	v_add_nc_u32_e32 v16, v17, v16
	v_mul_lo_u32 v17, s2, v10
	s_delay_alu instid0(VALU_DEP_2) | instskip(NEXT) | instid1(VALU_DEP_2)
	v_add_nc_u32_e32 v16, v16, v18
	v_mul_hi_u32 v18, v10, v17
	s_delay_alu instid0(VALU_DEP_2)
	v_mul_lo_u32 v19, v10, v16
	v_mul_hi_u32 v20, v10, v16
	v_mul_hi_u32 v21, v11, v17
	v_mul_lo_u32 v17, v11, v17
	v_mul_hi_u32 v22, v11, v16
	v_mul_lo_u32 v16, v11, v16
	v_add_co_u32 v18, vcc_lo, v18, v19
	v_add_co_ci_u32_e32 v19, vcc_lo, 0, v20, vcc_lo
	s_delay_alu instid0(VALU_DEP_2) | instskip(NEXT) | instid1(VALU_DEP_2)
	v_add_co_u32 v17, vcc_lo, v18, v17
	v_add_co_ci_u32_e32 v17, vcc_lo, v19, v21, vcc_lo
	v_add_co_ci_u32_e32 v18, vcc_lo, 0, v22, vcc_lo
	v_ashrrev_i32_e32 v21, 31, v15
	s_delay_alu instid0(VALU_DEP_3) | instskip(NEXT) | instid1(VALU_DEP_3)
	v_add_co_u32 v16, vcc_lo, v17, v16
	v_add_co_ci_u32_e32 v17, vcc_lo, 0, v18, vcc_lo
	s_delay_alu instid0(VALU_DEP_2) | instskip(NEXT) | instid1(VALU_DEP_2)
	v_add_co_u32 v10, vcc_lo, v10, v16
	v_add_co_ci_u32_e32 v11, vcc_lo, v11, v17, vcc_lo
	s_delay_alu instid0(VALU_DEP_2) | instskip(SKIP_1) | instid1(VALU_DEP_3)
	v_mul_hi_u32 v16, s2, v10
	v_mul_lo_u32 v18, s5, v10
	v_mul_lo_u32 v17, s2, v11
	s_delay_alu instid0(VALU_DEP_1) | instskip(SKIP_1) | instid1(VALU_DEP_2)
	v_add_nc_u32_e32 v16, v16, v17
	v_mul_lo_u32 v17, s2, v10
	v_add_nc_u32_e32 v16, v16, v18
	s_delay_alu instid0(VALU_DEP_2) | instskip(NEXT) | instid1(VALU_DEP_2)
	v_mul_hi_u32 v18, v10, v17
	v_mul_lo_u32 v19, v10, v16
	v_mul_hi_u32 v20, v10, v16
	v_mul_hi_u32 v22, v11, v17
	v_mul_lo_u32 v17, v11, v17
	v_mul_hi_u32 v23, v11, v16
	v_mul_lo_u32 v16, v11, v16
	v_add_co_u32 v18, vcc_lo, v18, v19
	v_add_co_ci_u32_e32 v19, vcc_lo, 0, v20, vcc_lo
	s_delay_alu instid0(VALU_DEP_2) | instskip(NEXT) | instid1(VALU_DEP_2)
	v_add_co_u32 v17, vcc_lo, v18, v17
	v_add_co_ci_u32_e32 v17, vcc_lo, v19, v22, vcc_lo
	v_add_co_ci_u32_e32 v18, vcc_lo, 0, v23, vcc_lo
	v_add_co_u32 v19, vcc_lo, v14, v21
	v_add_co_ci_u32_e32 v20, vcc_lo, v15, v21, vcc_lo
	s_delay_alu instid0(VALU_DEP_4) | instskip(NEXT) | instid1(VALU_DEP_4)
	v_add_co_u32 v16, vcc_lo, v17, v16
	v_add_co_ci_u32_e32 v17, vcc_lo, 0, v18, vcc_lo
	s_delay_alu instid0(VALU_DEP_4) | instskip(NEXT) | instid1(VALU_DEP_3)
	v_xor_b32_e32 v22, v19, v21
	v_add_co_u32 v18, vcc_lo, v10, v16
	s_delay_alu instid0(VALU_DEP_3) | instskip(SKIP_1) | instid1(VALU_DEP_3)
	v_add_co_ci_u32_e32 v23, vcc_lo, v11, v17, vcc_lo
	v_xor_b32_e32 v20, v20, v21
	v_mul_hi_u32 v24, v22, v18
	s_delay_alu instid0(VALU_DEP_3) | instskip(NEXT) | instid1(VALU_DEP_3)
	v_mad_u64_u32 v[10:11], null, v22, v23, 0
	v_mad_u64_u32 v[16:17], null, v20, v18, 0
	;; [unrolled: 1-line block ×3, first 2 shown]
	s_delay_alu instid0(VALU_DEP_3) | instskip(NEXT) | instid1(VALU_DEP_4)
	v_add_co_u32 v10, vcc_lo, v24, v10
	v_add_co_ci_u32_e32 v11, vcc_lo, 0, v11, vcc_lo
	s_delay_alu instid0(VALU_DEP_2) | instskip(NEXT) | instid1(VALU_DEP_2)
	v_add_co_u32 v10, vcc_lo, v10, v16
	v_add_co_ci_u32_e32 v10, vcc_lo, v11, v17, vcc_lo
	v_add_co_ci_u32_e32 v11, vcc_lo, 0, v19, vcc_lo
	s_delay_alu instid0(VALU_DEP_2) | instskip(NEXT) | instid1(VALU_DEP_2)
	v_add_co_u32 v16, vcc_lo, v10, v18
	v_add_co_ci_u32_e32 v17, vcc_lo, 0, v11, vcc_lo
	s_delay_alu instid0(VALU_DEP_2) | instskip(SKIP_1) | instid1(VALU_DEP_3)
	v_mul_lo_u32 v18, s7, v16
	v_mad_u64_u32 v[10:11], null, s6, v16, 0
	v_mul_lo_u32 v19, s6, v17
	s_delay_alu instid0(VALU_DEP_2) | instskip(NEXT) | instid1(VALU_DEP_2)
	v_sub_co_u32 v10, vcc_lo, v22, v10
	v_add3_u32 v11, v11, v19, v18
	s_delay_alu instid0(VALU_DEP_1) | instskip(NEXT) | instid1(VALU_DEP_1)
	v_sub_nc_u32_e32 v18, v20, v11
	v_subrev_co_ci_u32_e64 v18, s2, s7, v18, vcc_lo
	v_add_co_u32 v19, s2, v16, 2
	s_delay_alu instid0(VALU_DEP_1) | instskip(SKIP_3) | instid1(VALU_DEP_3)
	v_add_co_ci_u32_e64 v22, s2, 0, v17, s2
	v_sub_co_u32 v23, s2, v10, s6
	v_sub_co_ci_u32_e32 v11, vcc_lo, v20, v11, vcc_lo
	v_subrev_co_ci_u32_e64 v18, s2, 0, v18, s2
	v_cmp_le_u32_e32 vcc_lo, s6, v23
	s_delay_alu instid0(VALU_DEP_3) | instskip(SKIP_1) | instid1(VALU_DEP_4)
	v_cmp_eq_u32_e64 s2, s7, v11
	v_cndmask_b32_e64 v20, 0, -1, vcc_lo
	v_cmp_le_u32_e32 vcc_lo, s7, v18
	v_cndmask_b32_e64 v23, 0, -1, vcc_lo
	v_cmp_le_u32_e32 vcc_lo, s6, v10
	;; [unrolled: 2-line block ×3, first 2 shown]
	v_cndmask_b32_e64 v24, 0, -1, vcc_lo
	v_cmp_eq_u32_e32 vcc_lo, s7, v18
	s_delay_alu instid0(VALU_DEP_2) | instskip(SKIP_3) | instid1(VALU_DEP_3)
	v_cndmask_b32_e64 v10, v24, v10, s2
	v_cndmask_b32_e32 v18, v23, v20, vcc_lo
	v_add_co_u32 v20, vcc_lo, v16, 1
	v_add_co_ci_u32_e32 v23, vcc_lo, 0, v17, vcc_lo
	v_cmp_ne_u32_e32 vcc_lo, 0, v18
	s_delay_alu instid0(VALU_DEP_2) | instskip(SKIP_2) | instid1(VALU_DEP_3)
	v_dual_cndmask_b32 v11, v23, v22 :: v_dual_cndmask_b32 v18, v20, v19
	v_cmp_ne_u32_e32 vcc_lo, 0, v10
	v_xor_b32_e32 v19, s4, v21
	v_dual_cndmask_b32 v10, v17, v11 :: v_dual_cndmask_b32 v11, v16, v18
	s_delay_alu instid0(VALU_DEP_1) | instskip(NEXT) | instid1(VALU_DEP_2)
	v_xor_b32_e32 v16, v10, v19
	v_xor_b32_e32 v11, v11, v19
	s_delay_alu instid0(VALU_DEP_1) | instskip(NEXT) | instid1(VALU_DEP_3)
	v_sub_co_u32 v10, vcc_lo, v11, v19
	v_sub_co_ci_u32_e32 v11, vcc_lo, v16, v19, vcc_lo
.LBB18_23:
	s_and_not1_saveexec_b32 s2, s3
	s_cbranch_execz .LBB18_25
; %bb.24:
	v_cvt_f32_u32_e32 v10, s40
	s_sub_i32 s3, 0, s40
	s_delay_alu instid0(VALU_DEP_1) | instskip(SKIP_2) | instid1(VALU_DEP_1)
	v_rcp_iflag_f32_e32 v10, v10
	s_waitcnt_depctr 0xfff
	v_mul_f32_e32 v10, 0x4f7ffffe, v10
	v_cvt_u32_f32_e32 v10, v10
	s_delay_alu instid0(VALU_DEP_1) | instskip(NEXT) | instid1(VALU_DEP_1)
	v_mul_lo_u32 v11, s3, v10
	v_mul_hi_u32 v11, v10, v11
	s_delay_alu instid0(VALU_DEP_1) | instskip(NEXT) | instid1(VALU_DEP_1)
	v_add_nc_u32_e32 v10, v10, v11
	v_mul_hi_u32 v10, v14, v10
	s_delay_alu instid0(VALU_DEP_1) | instskip(SKIP_1) | instid1(VALU_DEP_2)
	v_mul_lo_u32 v11, v10, s40
	v_add_nc_u32_e32 v16, 1, v10
	v_sub_nc_u32_e32 v11, v14, v11
	s_delay_alu instid0(VALU_DEP_1) | instskip(SKIP_1) | instid1(VALU_DEP_2)
	v_subrev_nc_u32_e32 v17, s40, v11
	v_cmp_le_u32_e32 vcc_lo, s40, v11
	v_dual_cndmask_b32 v11, v11, v17 :: v_dual_cndmask_b32 v10, v10, v16
	s_delay_alu instid0(VALU_DEP_1) | instskip(NEXT) | instid1(VALU_DEP_2)
	v_cmp_le_u32_e32 vcc_lo, s40, v11
	v_dual_mov_b32 v11, 0 :: v_dual_add_nc_u32 v16, 1, v10
	s_delay_alu instid0(VALU_DEP_1)
	v_cndmask_b32_e32 v10, v10, v16, vcc_lo
.LBB18_25:
	s_or_b32 exec_lo, exec_lo, s2
	v_mul_lo_u32 v18, v7, s22
	v_mul_lo_u32 v19, v6, s23
	v_mad_u64_u32 v[16:17], null, v6, s22, 0
	v_mul_lo_u32 v7, v7, s30
	v_mul_lo_u32 v3, v3, s36
	s_load_b64 s[0:1], s[0:1], 0x80
	s_delay_alu instid0(VALU_DEP_3) | instskip(NEXT) | instid1(VALU_DEP_4)
	v_add3_u32 v17, v17, v19, v18
	v_sub_co_u32 v16, vcc_lo, v12, v16
	s_delay_alu instid0(VALU_DEP_2) | instskip(NEXT) | instid1(VALU_DEP_2)
	v_sub_co_ci_u32_e32 v17, vcc_lo, v13, v17, vcc_lo
	v_mul_lo_u32 v18, v16, s29
	v_mad_u64_u32 v[12:13], null, v16, s28, s[16:17]
	s_delay_alu instid0(VALU_DEP_3) | instskip(NEXT) | instid1(VALU_DEP_1)
	v_mul_lo_u32 v16, v17, s28
	v_add3_u32 v13, v16, v13, v18
	v_mul_lo_u32 v18, v6, s31
	s_delay_alu instid0(VALU_DEP_2) | instskip(SKIP_1) | instid1(VALU_DEP_2)
	v_mad_u64_u32 v[16:17], null, v6, s30, v[12:13]
	v_mul_lo_u32 v12, v2, s37
	v_add3_u32 v17, v7, v17, v18
	s_delay_alu instid0(VALU_DEP_1) | instskip(NEXT) | instid1(VALU_DEP_1)
	v_mad_u64_u32 v[6:7], null, v2, s36, v[16:17]
	v_add3_u32 v7, v3, v7, v12
	v_mul_lo_u32 v12, v0, s39
	s_delay_alu instid0(VALU_DEP_2) | instskip(SKIP_1) | instid1(VALU_DEP_1)
	v_mad_u64_u32 v[2:3], null, v0, s38, v[6:7]
	v_mul_lo_u32 v0, v1, s38
	v_add3_u32 v3, v0, v3, v12
	v_mad_u64_u32 v[0:1], null, v10, s40, 0
	global_load_b32 v6, v[2:3], off
	v_mul_lo_u32 v2, v11, s40
	v_mul_lo_u32 v3, v10, s41
	s_delay_alu instid0(VALU_DEP_1) | instskip(SKIP_1) | instid1(VALU_DEP_2)
	v_add3_u32 v1, v1, v3, v2
	v_sub_co_u32 v2, vcc_lo, v14, v0
	v_sub_co_ci_u32_e32 v0, vcc_lo, v15, v1, vcc_lo
	s_delay_alu instid0(VALU_DEP_2) | instskip(NEXT) | instid1(VALU_DEP_2)
	v_mul_lo_u32 v3, v2, s47
	v_mul_lo_u32 v7, v0, s46
	v_mad_u64_u32 v[0:1], null, v2, s46, s[18:19]
	s_delay_alu instid0(VALU_DEP_1) | instskip(NEXT) | instid1(VALU_DEP_1)
	v_add3_u32 v1, v7, v1, v3
	v_mad_u64_u32 v[2:3], null, v10, s48, v[0:1]
	v_mul_lo_u32 v0, v10, s49
	v_mul_lo_u32 v1, v11, s48
	s_delay_alu instid0(VALU_DEP_1) | instskip(NEXT) | instid1(VALU_DEP_1)
	v_add3_u32 v3, v1, v3, v0
	v_mad_u64_u32 v[0:1], null, v4, s50, v[2:3]
	v_mul_lo_u32 v2, v4, s51
	v_mul_lo_u32 v3, v5, s50
	s_delay_alu instid0(VALU_DEP_1) | instskip(SKIP_1) | instid1(VALU_DEP_1)
	v_add3_u32 v1, v3, v1, v2
	s_waitcnt lgkmcnt(0)
	v_mad_u64_u32 v[2:3], null, v8, s0, v[0:1]
	v_mul_lo_u32 v0, v8, s1
	v_mul_lo_u32 v1, v9, s0
	s_delay_alu instid0(VALU_DEP_1)
	v_add3_u32 v3, v1, v3, v0
	s_waitcnt vmcnt(0)
	v_cvt_f16_f32_e32 v0, v6
	global_store_b16 v[2:3], v0, off
.LBB18_26:
	s_nop 0
	s_sendmsg sendmsg(MSG_DEALLOC_VGPRS)
	s_endpgm
	.section	.rodata,"a",@progbits
	.p2align	6, 0x0
	.amdhsa_kernel _ZL10cpy_scalarIXadL_ZL12cpy_1_scalarIf6__halfEvPKcPcEEEvS3_S4_lllllllllllllll
		.amdhsa_group_segment_fixed_size 0
		.amdhsa_private_segment_fixed_size 0
		.amdhsa_kernarg_size 392
		.amdhsa_user_sgpr_count 15
		.amdhsa_user_sgpr_dispatch_ptr 0
		.amdhsa_user_sgpr_queue_ptr 0
		.amdhsa_user_sgpr_kernarg_segment_ptr 1
		.amdhsa_user_sgpr_dispatch_id 0
		.amdhsa_user_sgpr_private_segment_size 0
		.amdhsa_wavefront_size32 1
		.amdhsa_uses_dynamic_stack 0
		.amdhsa_enable_private_segment 0
		.amdhsa_system_sgpr_workgroup_id_x 1
		.amdhsa_system_sgpr_workgroup_id_y 0
		.amdhsa_system_sgpr_workgroup_id_z 0
		.amdhsa_system_sgpr_workgroup_info 0
		.amdhsa_system_vgpr_workitem_id 0
		.amdhsa_next_free_vgpr 25
		.amdhsa_next_free_sgpr 52
		.amdhsa_reserve_vcc 1
		.amdhsa_float_round_mode_32 0
		.amdhsa_float_round_mode_16_64 0
		.amdhsa_float_denorm_mode_32 3
		.amdhsa_float_denorm_mode_16_64 3
		.amdhsa_dx10_clamp 1
		.amdhsa_ieee_mode 1
		.amdhsa_fp16_overflow 0
		.amdhsa_workgroup_processor_mode 1
		.amdhsa_memory_ordered 1
		.amdhsa_forward_progress 0
		.amdhsa_shared_vgpr_count 0
		.amdhsa_exception_fp_ieee_invalid_op 0
		.amdhsa_exception_fp_denorm_src 0
		.amdhsa_exception_fp_ieee_div_zero 0
		.amdhsa_exception_fp_ieee_overflow 0
		.amdhsa_exception_fp_ieee_underflow 0
		.amdhsa_exception_fp_ieee_inexact 0
		.amdhsa_exception_int_div_zero 0
	.end_amdhsa_kernel
	.section	.text._ZL10cpy_scalarIXadL_ZL12cpy_1_scalarIf6__halfEvPKcPcEEEvS3_S4_lllllllllllllll,"axG",@progbits,_ZL10cpy_scalarIXadL_ZL12cpy_1_scalarIf6__halfEvPKcPcEEEvS3_S4_lllllllllllllll,comdat
.Lfunc_end18:
	.size	_ZL10cpy_scalarIXadL_ZL12cpy_1_scalarIf6__halfEvPKcPcEEEvS3_S4_lllllllllllllll, .Lfunc_end18-_ZL10cpy_scalarIXadL_ZL12cpy_1_scalarIf6__halfEvPKcPcEEEvS3_S4_lllllllllllllll
                                        ; -- End function
	.section	.AMDGPU.csdata,"",@progbits
; Kernel info:
; codeLenInByte = 6832
; NumSgprs: 54
; NumVgprs: 25
; ScratchSize: 0
; MemoryBound: 0
; FloatMode: 240
; IeeeMode: 1
; LDSByteSize: 0 bytes/workgroup (compile time only)
; SGPRBlocks: 6
; VGPRBlocks: 3
; NumSGPRsForWavesPerEU: 54
; NumVGPRsForWavesPerEU: 25
; Occupancy: 16
; WaveLimiterHint : 0
; COMPUTE_PGM_RSRC2:SCRATCH_EN: 0
; COMPUTE_PGM_RSRC2:USER_SGPR: 15
; COMPUTE_PGM_RSRC2:TRAP_HANDLER: 0
; COMPUTE_PGM_RSRC2:TGID_X_EN: 1
; COMPUTE_PGM_RSRC2:TGID_Y_EN: 0
; COMPUTE_PGM_RSRC2:TGID_Z_EN: 0
; COMPUTE_PGM_RSRC2:TIDIG_COMP_CNT: 0
	.section	.text._ZL10cpy_scalarIXadL_ZL12cpy_1_scalarI6__halfS1_EvPKcPcEEEvS3_S4_lllllllllllllll,"axG",@progbits,_ZL10cpy_scalarIXadL_ZL12cpy_1_scalarI6__halfS1_EvPKcPcEEEvS3_S4_lllllllllllllll,comdat
	.globl	_ZL10cpy_scalarIXadL_ZL12cpy_1_scalarI6__halfS1_EvPKcPcEEEvS3_S4_lllllllllllllll ; -- Begin function _ZL10cpy_scalarIXadL_ZL12cpy_1_scalarI6__halfS1_EvPKcPcEEEvS3_S4_lllllllllllllll
	.p2align	8
	.type	_ZL10cpy_scalarIXadL_ZL12cpy_1_scalarI6__halfS1_EvPKcPcEEEvS3_S4_lllllllllllllll,@function
_ZL10cpy_scalarIXadL_ZL12cpy_1_scalarI6__halfS1_EvPKcPcEEEvS3_S4_lllllllllllllll: ; @_ZL10cpy_scalarIXadL_ZL12cpy_1_scalarI6__halfS1_EvPKcPcEEEvS3_S4_lllllllllllllll
; %bb.0:
	s_clause 0x1
	s_load_b32 s2, s[0:1], 0x94
	s_load_b512 s[16:31], s[0:1], 0x0
	v_mov_b32_e32 v2, 0
	s_delay_alu instid0(VALU_DEP_1)
	v_mov_b32_e32 v1, v2
	s_waitcnt lgkmcnt(0)
	s_and_b32 s2, s2, 0xffff
	s_delay_alu instid0(VALU_DEP_1) | instid1(SALU_CYCLE_1)
	v_mad_u64_u32 v[4:5], null, s2, s15, v[0:1]
	s_mov_b32 s2, exec_lo
	s_delay_alu instid0(VALU_DEP_1)
	v_cmpx_gt_i64_e64 s[20:21], v[4:5]
	s_cbranch_execz .LBB19_26
; %bb.1:
	s_mul_i32 s2, s24, s23
	s_mul_hi_u32 s3, s24, s22
	v_ashrrev_i32_e32 v10, 31, v5
	s_add_i32 s8, s3, s2
	s_mul_i32 s3, s24, s22
	s_mul_i32 s2, s25, s22
	;; [unrolled: 1-line block ×3, first 2 shown]
	s_mul_hi_u32 s5, s3, s26
	s_add_i32 s8, s8, s2
	s_add_i32 s2, s5, s4
	s_mul_i32 s4, s8, s26
	s_mul_i32 s10, s3, s26
	s_add_i32 s9, s2, s4
                                        ; implicit-def: $vgpr0_vgpr1
	s_mov_b32 s2, exec_lo
	v_or_b32_e32 v3, s9, v5
	s_delay_alu instid0(VALU_DEP_1)
	v_cmpx_ne_u64_e32 0, v[2:3]
	s_xor_b32 s11, exec_lo, s2
	s_cbranch_execz .LBB19_3
; %bb.2:
	s_ashr_i32 s4, s9, 31
	s_delay_alu instid0(SALU_CYCLE_1) | instskip(SKIP_2) | instid1(SALU_CYCLE_1)
	s_add_u32 s6, s10, s4
	s_mov_b32 s5, s4
	s_addc_u32 s7, s9, s4
	s_xor_b64 s[6:7], s[6:7], s[4:5]
	s_delay_alu instid0(SALU_CYCLE_1) | instskip(SKIP_3) | instid1(VALU_DEP_1)
	v_cvt_f32_u32_e32 v0, s6
	v_cvt_f32_u32_e32 v1, s7
	s_sub_u32 s2, 0, s6
	s_subb_u32 s5, 0, s7
	v_fmamk_f32 v0, v1, 0x4f800000, v0
	s_delay_alu instid0(VALU_DEP_1) | instskip(SKIP_2) | instid1(VALU_DEP_1)
	v_rcp_f32_e32 v0, v0
	s_waitcnt_depctr 0xfff
	v_mul_f32_e32 v0, 0x5f7ffffc, v0
	v_mul_f32_e32 v1, 0x2f800000, v0
	s_delay_alu instid0(VALU_DEP_1) | instskip(NEXT) | instid1(VALU_DEP_1)
	v_trunc_f32_e32 v1, v1
	v_fmamk_f32 v0, v1, 0xcf800000, v0
	v_cvt_u32_f32_e32 v1, v1
	s_delay_alu instid0(VALU_DEP_2) | instskip(NEXT) | instid1(VALU_DEP_2)
	v_cvt_u32_f32_e32 v0, v0
	v_mul_lo_u32 v2, s2, v1
	s_delay_alu instid0(VALU_DEP_2) | instskip(SKIP_1) | instid1(VALU_DEP_2)
	v_mul_hi_u32 v3, s2, v0
	v_mul_lo_u32 v6, s5, v0
	v_add_nc_u32_e32 v2, v3, v2
	v_mul_lo_u32 v3, s2, v0
	s_delay_alu instid0(VALU_DEP_2) | instskip(NEXT) | instid1(VALU_DEP_2)
	v_add_nc_u32_e32 v2, v2, v6
	v_mul_hi_u32 v6, v0, v3
	s_delay_alu instid0(VALU_DEP_2)
	v_mul_lo_u32 v7, v0, v2
	v_mul_hi_u32 v8, v0, v2
	v_mul_hi_u32 v9, v1, v3
	v_mul_lo_u32 v3, v1, v3
	v_mul_hi_u32 v11, v1, v2
	v_mul_lo_u32 v2, v1, v2
	v_add_co_u32 v6, vcc_lo, v6, v7
	v_add_co_ci_u32_e32 v7, vcc_lo, 0, v8, vcc_lo
	s_delay_alu instid0(VALU_DEP_2) | instskip(NEXT) | instid1(VALU_DEP_2)
	v_add_co_u32 v3, vcc_lo, v6, v3
	v_add_co_ci_u32_e32 v3, vcc_lo, v7, v9, vcc_lo
	v_add_co_ci_u32_e32 v6, vcc_lo, 0, v11, vcc_lo
	s_delay_alu instid0(VALU_DEP_2) | instskip(NEXT) | instid1(VALU_DEP_2)
	v_add_co_u32 v2, vcc_lo, v3, v2
	v_add_co_ci_u32_e32 v3, vcc_lo, 0, v6, vcc_lo
	s_delay_alu instid0(VALU_DEP_2) | instskip(NEXT) | instid1(VALU_DEP_2)
	v_add_co_u32 v0, vcc_lo, v0, v2
	v_add_co_ci_u32_e32 v1, vcc_lo, v1, v3, vcc_lo
	s_delay_alu instid0(VALU_DEP_2) | instskip(SKIP_1) | instid1(VALU_DEP_3)
	v_mul_hi_u32 v2, s2, v0
	v_mul_lo_u32 v6, s5, v0
	v_mul_lo_u32 v3, s2, v1
	s_delay_alu instid0(VALU_DEP_1) | instskip(SKIP_1) | instid1(VALU_DEP_2)
	v_add_nc_u32_e32 v2, v2, v3
	v_mul_lo_u32 v3, s2, v0
	v_add_nc_u32_e32 v2, v2, v6
	s_delay_alu instid0(VALU_DEP_2) | instskip(NEXT) | instid1(VALU_DEP_2)
	v_mul_hi_u32 v6, v0, v3
	v_mul_lo_u32 v7, v0, v2
	v_mul_hi_u32 v8, v0, v2
	v_mul_hi_u32 v9, v1, v3
	v_mul_lo_u32 v3, v1, v3
	v_mul_hi_u32 v11, v1, v2
	v_mul_lo_u32 v2, v1, v2
	v_add_co_u32 v6, vcc_lo, v6, v7
	v_add_co_ci_u32_e32 v7, vcc_lo, 0, v8, vcc_lo
	s_delay_alu instid0(VALU_DEP_2) | instskip(NEXT) | instid1(VALU_DEP_2)
	v_add_co_u32 v3, vcc_lo, v6, v3
	v_add_co_ci_u32_e32 v3, vcc_lo, v7, v9, vcc_lo
	v_add_co_ci_u32_e32 v6, vcc_lo, 0, v11, vcc_lo
	v_add_co_u32 v7, vcc_lo, v4, v10
	v_add_co_ci_u32_e32 v8, vcc_lo, v5, v10, vcc_lo
	s_delay_alu instid0(VALU_DEP_4) | instskip(NEXT) | instid1(VALU_DEP_4)
	v_add_co_u32 v2, vcc_lo, v3, v2
	v_add_co_ci_u32_e32 v3, vcc_lo, 0, v6, vcc_lo
	s_delay_alu instid0(VALU_DEP_4) | instskip(NEXT) | instid1(VALU_DEP_3)
	v_xor_b32_e32 v9, v7, v10
	v_add_co_u32 v6, vcc_lo, v0, v2
	s_delay_alu instid0(VALU_DEP_3) | instskip(SKIP_1) | instid1(VALU_DEP_3)
	v_add_co_ci_u32_e32 v11, vcc_lo, v1, v3, vcc_lo
	v_xor_b32_e32 v8, v8, v10
	v_mul_hi_u32 v12, v9, v6
	s_delay_alu instid0(VALU_DEP_3) | instskip(NEXT) | instid1(VALU_DEP_3)
	v_mad_u64_u32 v[0:1], null, v9, v11, 0
	v_mad_u64_u32 v[2:3], null, v8, v6, 0
	;; [unrolled: 1-line block ×3, first 2 shown]
	s_delay_alu instid0(VALU_DEP_3) | instskip(NEXT) | instid1(VALU_DEP_4)
	v_add_co_u32 v0, vcc_lo, v12, v0
	v_add_co_ci_u32_e32 v1, vcc_lo, 0, v1, vcc_lo
	s_delay_alu instid0(VALU_DEP_2) | instskip(NEXT) | instid1(VALU_DEP_2)
	v_add_co_u32 v0, vcc_lo, v0, v2
	v_add_co_ci_u32_e32 v0, vcc_lo, v1, v3, vcc_lo
	v_add_co_ci_u32_e32 v1, vcc_lo, 0, v7, vcc_lo
	s_delay_alu instid0(VALU_DEP_2) | instskip(NEXT) | instid1(VALU_DEP_2)
	v_add_co_u32 v2, vcc_lo, v0, v6
	v_add_co_ci_u32_e32 v3, vcc_lo, 0, v1, vcc_lo
	s_delay_alu instid0(VALU_DEP_2) | instskip(SKIP_1) | instid1(VALU_DEP_3)
	v_mul_lo_u32 v6, s7, v2
	v_mad_u64_u32 v[0:1], null, s6, v2, 0
	v_mul_lo_u32 v7, s6, v3
	s_delay_alu instid0(VALU_DEP_2) | instskip(NEXT) | instid1(VALU_DEP_2)
	v_sub_co_u32 v0, vcc_lo, v9, v0
	v_add3_u32 v1, v1, v7, v6
	s_delay_alu instid0(VALU_DEP_1) | instskip(NEXT) | instid1(VALU_DEP_1)
	v_sub_nc_u32_e32 v6, v8, v1
	v_subrev_co_ci_u32_e64 v6, s2, s7, v6, vcc_lo
	v_add_co_u32 v7, s2, v2, 2
	s_delay_alu instid0(VALU_DEP_1) | instskip(SKIP_3) | instid1(VALU_DEP_3)
	v_add_co_ci_u32_e64 v9, s2, 0, v3, s2
	v_sub_co_u32 v11, s2, v0, s6
	v_sub_co_ci_u32_e32 v1, vcc_lo, v8, v1, vcc_lo
	v_subrev_co_ci_u32_e64 v6, s2, 0, v6, s2
	v_cmp_le_u32_e32 vcc_lo, s6, v11
	s_delay_alu instid0(VALU_DEP_3) | instskip(SKIP_1) | instid1(VALU_DEP_4)
	v_cmp_eq_u32_e64 s2, s7, v1
	v_cndmask_b32_e64 v8, 0, -1, vcc_lo
	v_cmp_le_u32_e32 vcc_lo, s7, v6
	v_cndmask_b32_e64 v11, 0, -1, vcc_lo
	v_cmp_le_u32_e32 vcc_lo, s6, v0
	;; [unrolled: 2-line block ×3, first 2 shown]
	v_cndmask_b32_e64 v12, 0, -1, vcc_lo
	v_cmp_eq_u32_e32 vcc_lo, s7, v6
	s_delay_alu instid0(VALU_DEP_2) | instskip(SKIP_3) | instid1(VALU_DEP_3)
	v_cndmask_b32_e64 v0, v12, v0, s2
	v_cndmask_b32_e32 v6, v11, v8, vcc_lo
	v_add_co_u32 v8, vcc_lo, v2, 1
	v_add_co_ci_u32_e32 v11, vcc_lo, 0, v3, vcc_lo
	v_cmp_ne_u32_e32 vcc_lo, 0, v6
	s_delay_alu instid0(VALU_DEP_2) | instskip(SKIP_2) | instid1(VALU_DEP_3)
	v_dual_cndmask_b32 v1, v11, v9 :: v_dual_cndmask_b32 v6, v8, v7
	v_cmp_ne_u32_e32 vcc_lo, 0, v0
	v_xor_b32_e32 v7, s4, v10
	v_dual_cndmask_b32 v0, v3, v1 :: v_dual_cndmask_b32 v1, v2, v6
	s_delay_alu instid0(VALU_DEP_1) | instskip(NEXT) | instid1(VALU_DEP_2)
	v_xor_b32_e32 v2, v0, v7
	v_xor_b32_e32 v1, v1, v7
	s_delay_alu instid0(VALU_DEP_1) | instskip(NEXT) | instid1(VALU_DEP_3)
	v_sub_co_u32 v0, vcc_lo, v1, v7
	v_sub_co_ci_u32_e32 v1, vcc_lo, v2, v7, vcc_lo
.LBB19_3:
	s_and_not1_saveexec_b32 s2, s11
	s_cbranch_execz .LBB19_5
; %bb.4:
	v_cvt_f32_u32_e32 v0, s10
	s_sub_i32 s4, 0, s10
	s_delay_alu instid0(VALU_DEP_1) | instskip(SKIP_2) | instid1(VALU_DEP_1)
	v_rcp_iflag_f32_e32 v0, v0
	s_waitcnt_depctr 0xfff
	v_mul_f32_e32 v0, 0x4f7ffffe, v0
	v_cvt_u32_f32_e32 v0, v0
	s_delay_alu instid0(VALU_DEP_1) | instskip(NEXT) | instid1(VALU_DEP_1)
	v_mul_lo_u32 v1, s4, v0
	v_mul_hi_u32 v1, v0, v1
	s_delay_alu instid0(VALU_DEP_1) | instskip(NEXT) | instid1(VALU_DEP_1)
	v_add_nc_u32_e32 v0, v0, v1
	v_mul_hi_u32 v0, v4, v0
	s_delay_alu instid0(VALU_DEP_1) | instskip(SKIP_1) | instid1(VALU_DEP_2)
	v_mul_lo_u32 v1, v0, s10
	v_add_nc_u32_e32 v2, 1, v0
	v_sub_nc_u32_e32 v1, v4, v1
	s_delay_alu instid0(VALU_DEP_1) | instskip(SKIP_1) | instid1(VALU_DEP_2)
	v_subrev_nc_u32_e32 v3, s10, v1
	v_cmp_le_u32_e32 vcc_lo, s10, v1
	v_dual_cndmask_b32 v1, v1, v3 :: v_dual_cndmask_b32 v0, v0, v2
	s_delay_alu instid0(VALU_DEP_1) | instskip(NEXT) | instid1(VALU_DEP_2)
	v_cmp_le_u32_e32 vcc_lo, s10, v1
	v_dual_mov_b32 v1, 0 :: v_dual_add_nc_u32 v2, 1, v0
	s_delay_alu instid0(VALU_DEP_1)
	v_cndmask_b32_e32 v0, v0, v2, vcc_lo
.LBB19_5:
	s_or_b32 exec_lo, exec_lo, s2
	s_delay_alu instid0(VALU_DEP_1) | instskip(NEXT) | instid1(VALU_DEP_2)
	v_mul_lo_u32 v6, s9, v0
	v_mul_lo_u32 v7, s10, v1
	v_mad_u64_u32 v[2:3], null, s10, v0, 0
	s_delay_alu instid0(VALU_DEP_1) | instskip(NEXT) | instid1(VALU_DEP_2)
	v_add3_u32 v3, v3, v7, v6
	v_sub_co_u32 v6, vcc_lo, v4, v2
	v_mov_b32_e32 v2, 0
	s_delay_alu instid0(VALU_DEP_3) | instskip(NEXT) | instid1(VALU_DEP_1)
	v_sub_co_ci_u32_e32 v7, vcc_lo, v5, v3, vcc_lo
	v_or_b32_e32 v3, s8, v7
	s_delay_alu instid0(VALU_DEP_1) | instskip(SKIP_1) | instid1(SALU_CYCLE_1)
	v_cmp_ne_u64_e32 vcc_lo, 0, v[2:3]
                                        ; implicit-def: $vgpr2_vgpr3
	s_and_saveexec_b32 s2, vcc_lo
	s_xor_b32 s9, exec_lo, s2
	s_cbranch_execz .LBB19_7
; %bb.6:
	s_ashr_i32 s4, s8, 31
	s_delay_alu instid0(SALU_CYCLE_1) | instskip(SKIP_2) | instid1(SALU_CYCLE_1)
	s_add_u32 s6, s3, s4
	s_mov_b32 s5, s4
	s_addc_u32 s7, s8, s4
	s_xor_b64 s[6:7], s[6:7], s[4:5]
	s_delay_alu instid0(SALU_CYCLE_1) | instskip(SKIP_3) | instid1(VALU_DEP_1)
	v_cvt_f32_u32_e32 v2, s6
	v_cvt_f32_u32_e32 v3, s7
	s_sub_u32 s2, 0, s6
	s_subb_u32 s5, 0, s7
	v_fmamk_f32 v2, v3, 0x4f800000, v2
	s_delay_alu instid0(VALU_DEP_1) | instskip(SKIP_2) | instid1(VALU_DEP_1)
	v_rcp_f32_e32 v2, v2
	s_waitcnt_depctr 0xfff
	v_mul_f32_e32 v2, 0x5f7ffffc, v2
	v_mul_f32_e32 v3, 0x2f800000, v2
	s_delay_alu instid0(VALU_DEP_1) | instskip(NEXT) | instid1(VALU_DEP_1)
	v_trunc_f32_e32 v3, v3
	v_fmamk_f32 v2, v3, 0xcf800000, v2
	v_cvt_u32_f32_e32 v3, v3
	s_delay_alu instid0(VALU_DEP_2) | instskip(NEXT) | instid1(VALU_DEP_2)
	v_cvt_u32_f32_e32 v2, v2
	v_mul_lo_u32 v8, s2, v3
	s_delay_alu instid0(VALU_DEP_2) | instskip(SKIP_1) | instid1(VALU_DEP_2)
	v_mul_hi_u32 v9, s2, v2
	v_mul_lo_u32 v11, s5, v2
	v_add_nc_u32_e32 v8, v9, v8
	v_mul_lo_u32 v9, s2, v2
	s_delay_alu instid0(VALU_DEP_2) | instskip(NEXT) | instid1(VALU_DEP_2)
	v_add_nc_u32_e32 v8, v8, v11
	v_mul_hi_u32 v11, v2, v9
	s_delay_alu instid0(VALU_DEP_2)
	v_mul_lo_u32 v12, v2, v8
	v_mul_hi_u32 v13, v2, v8
	v_mul_hi_u32 v14, v3, v9
	v_mul_lo_u32 v9, v3, v9
	v_mul_hi_u32 v15, v3, v8
	v_mul_lo_u32 v8, v3, v8
	v_add_co_u32 v11, vcc_lo, v11, v12
	v_add_co_ci_u32_e32 v12, vcc_lo, 0, v13, vcc_lo
	s_delay_alu instid0(VALU_DEP_2) | instskip(NEXT) | instid1(VALU_DEP_2)
	v_add_co_u32 v9, vcc_lo, v11, v9
	v_add_co_ci_u32_e32 v9, vcc_lo, v12, v14, vcc_lo
	v_add_co_ci_u32_e32 v11, vcc_lo, 0, v15, vcc_lo
	v_ashrrev_i32_e32 v14, 31, v7
	s_delay_alu instid0(VALU_DEP_3) | instskip(NEXT) | instid1(VALU_DEP_3)
	v_add_co_u32 v8, vcc_lo, v9, v8
	v_add_co_ci_u32_e32 v9, vcc_lo, 0, v11, vcc_lo
	s_delay_alu instid0(VALU_DEP_2) | instskip(NEXT) | instid1(VALU_DEP_2)
	v_add_co_u32 v2, vcc_lo, v2, v8
	v_add_co_ci_u32_e32 v3, vcc_lo, v3, v9, vcc_lo
	s_delay_alu instid0(VALU_DEP_2) | instskip(SKIP_1) | instid1(VALU_DEP_3)
	v_mul_hi_u32 v8, s2, v2
	v_mul_lo_u32 v11, s5, v2
	v_mul_lo_u32 v9, s2, v3
	s_delay_alu instid0(VALU_DEP_1) | instskip(SKIP_1) | instid1(VALU_DEP_2)
	v_add_nc_u32_e32 v8, v8, v9
	v_mul_lo_u32 v9, s2, v2
	v_add_nc_u32_e32 v8, v8, v11
	s_delay_alu instid0(VALU_DEP_2) | instskip(NEXT) | instid1(VALU_DEP_2)
	v_mul_hi_u32 v11, v2, v9
	v_mul_lo_u32 v12, v2, v8
	v_mul_hi_u32 v13, v2, v8
	v_mul_hi_u32 v15, v3, v9
	v_mul_lo_u32 v9, v3, v9
	v_mul_hi_u32 v16, v3, v8
	v_mul_lo_u32 v8, v3, v8
	v_add_co_u32 v11, vcc_lo, v11, v12
	v_add_co_ci_u32_e32 v12, vcc_lo, 0, v13, vcc_lo
	s_delay_alu instid0(VALU_DEP_2) | instskip(NEXT) | instid1(VALU_DEP_2)
	v_add_co_u32 v9, vcc_lo, v11, v9
	v_add_co_ci_u32_e32 v9, vcc_lo, v12, v15, vcc_lo
	v_add_co_ci_u32_e32 v11, vcc_lo, 0, v16, vcc_lo
	v_add_co_u32 v12, vcc_lo, v6, v14
	v_add_co_ci_u32_e32 v13, vcc_lo, v7, v14, vcc_lo
	s_delay_alu instid0(VALU_DEP_4) | instskip(NEXT) | instid1(VALU_DEP_4)
	v_add_co_u32 v8, vcc_lo, v9, v8
	v_add_co_ci_u32_e32 v9, vcc_lo, 0, v11, vcc_lo
	s_delay_alu instid0(VALU_DEP_4) | instskip(NEXT) | instid1(VALU_DEP_3)
	v_xor_b32_e32 v15, v12, v14
	v_add_co_u32 v11, vcc_lo, v2, v8
	s_delay_alu instid0(VALU_DEP_3) | instskip(SKIP_1) | instid1(VALU_DEP_3)
	v_add_co_ci_u32_e32 v16, vcc_lo, v3, v9, vcc_lo
	v_xor_b32_e32 v13, v13, v14
	v_mul_hi_u32 v17, v15, v11
	s_delay_alu instid0(VALU_DEP_3) | instskip(NEXT) | instid1(VALU_DEP_3)
	v_mad_u64_u32 v[2:3], null, v15, v16, 0
	v_mad_u64_u32 v[8:9], null, v13, v11, 0
	;; [unrolled: 1-line block ×3, first 2 shown]
	s_delay_alu instid0(VALU_DEP_3) | instskip(NEXT) | instid1(VALU_DEP_4)
	v_add_co_u32 v2, vcc_lo, v17, v2
	v_add_co_ci_u32_e32 v3, vcc_lo, 0, v3, vcc_lo
	s_delay_alu instid0(VALU_DEP_2) | instskip(NEXT) | instid1(VALU_DEP_2)
	v_add_co_u32 v2, vcc_lo, v2, v8
	v_add_co_ci_u32_e32 v2, vcc_lo, v3, v9, vcc_lo
	v_add_co_ci_u32_e32 v3, vcc_lo, 0, v12, vcc_lo
	s_delay_alu instid0(VALU_DEP_2) | instskip(NEXT) | instid1(VALU_DEP_2)
	v_add_co_u32 v8, vcc_lo, v2, v11
	v_add_co_ci_u32_e32 v9, vcc_lo, 0, v3, vcc_lo
	s_delay_alu instid0(VALU_DEP_2) | instskip(SKIP_1) | instid1(VALU_DEP_3)
	v_mul_lo_u32 v11, s7, v8
	v_mad_u64_u32 v[2:3], null, s6, v8, 0
	v_mul_lo_u32 v12, s6, v9
	s_delay_alu instid0(VALU_DEP_2) | instskip(NEXT) | instid1(VALU_DEP_2)
	v_sub_co_u32 v2, vcc_lo, v15, v2
	v_add3_u32 v3, v3, v12, v11
	s_delay_alu instid0(VALU_DEP_1) | instskip(NEXT) | instid1(VALU_DEP_1)
	v_sub_nc_u32_e32 v11, v13, v3
	v_subrev_co_ci_u32_e64 v11, s2, s7, v11, vcc_lo
	v_add_co_u32 v12, s2, v8, 2
	s_delay_alu instid0(VALU_DEP_1) | instskip(SKIP_3) | instid1(VALU_DEP_3)
	v_add_co_ci_u32_e64 v15, s2, 0, v9, s2
	v_sub_co_u32 v16, s2, v2, s6
	v_sub_co_ci_u32_e32 v3, vcc_lo, v13, v3, vcc_lo
	v_subrev_co_ci_u32_e64 v11, s2, 0, v11, s2
	v_cmp_le_u32_e32 vcc_lo, s6, v16
	s_delay_alu instid0(VALU_DEP_3) | instskip(SKIP_1) | instid1(VALU_DEP_4)
	v_cmp_eq_u32_e64 s2, s7, v3
	v_cndmask_b32_e64 v13, 0, -1, vcc_lo
	v_cmp_le_u32_e32 vcc_lo, s7, v11
	v_cndmask_b32_e64 v16, 0, -1, vcc_lo
	v_cmp_le_u32_e32 vcc_lo, s6, v2
	;; [unrolled: 2-line block ×3, first 2 shown]
	v_cndmask_b32_e64 v17, 0, -1, vcc_lo
	v_cmp_eq_u32_e32 vcc_lo, s7, v11
	s_delay_alu instid0(VALU_DEP_2) | instskip(SKIP_3) | instid1(VALU_DEP_3)
	v_cndmask_b32_e64 v2, v17, v2, s2
	v_cndmask_b32_e32 v11, v16, v13, vcc_lo
	v_add_co_u32 v13, vcc_lo, v8, 1
	v_add_co_ci_u32_e32 v16, vcc_lo, 0, v9, vcc_lo
	v_cmp_ne_u32_e32 vcc_lo, 0, v11
	s_delay_alu instid0(VALU_DEP_3) | instskip(NEXT) | instid1(VALU_DEP_3)
	v_cndmask_b32_e32 v11, v13, v12, vcc_lo
	v_cndmask_b32_e32 v3, v16, v15, vcc_lo
	v_cmp_ne_u32_e32 vcc_lo, 0, v2
	v_xor_b32_e32 v12, s4, v14
	s_delay_alu instid0(VALU_DEP_3) | instskip(SKIP_1) | instid1(VALU_DEP_2)
	v_cndmask_b32_e32 v2, v9, v3, vcc_lo
	v_cndmask_b32_e32 v3, v8, v11, vcc_lo
	v_xor_b32_e32 v8, v2, v12
	s_delay_alu instid0(VALU_DEP_2) | instskip(NEXT) | instid1(VALU_DEP_1)
	v_xor_b32_e32 v3, v3, v12
	v_sub_co_u32 v2, vcc_lo, v3, v12
	s_delay_alu instid0(VALU_DEP_3)
	v_sub_co_ci_u32_e32 v3, vcc_lo, v8, v12, vcc_lo
.LBB19_7:
	s_and_not1_saveexec_b32 s2, s9
	s_cbranch_execz .LBB19_9
; %bb.8:
	v_cvt_f32_u32_e32 v2, s3
	s_sub_i32 s4, 0, s3
	s_delay_alu instid0(VALU_DEP_1) | instskip(SKIP_2) | instid1(VALU_DEP_1)
	v_rcp_iflag_f32_e32 v2, v2
	s_waitcnt_depctr 0xfff
	v_mul_f32_e32 v2, 0x4f7ffffe, v2
	v_cvt_u32_f32_e32 v2, v2
	s_delay_alu instid0(VALU_DEP_1) | instskip(NEXT) | instid1(VALU_DEP_1)
	v_mul_lo_u32 v3, s4, v2
	v_mul_hi_u32 v3, v2, v3
	s_delay_alu instid0(VALU_DEP_1) | instskip(NEXT) | instid1(VALU_DEP_1)
	v_add_nc_u32_e32 v2, v2, v3
	v_mul_hi_u32 v2, v6, v2
	s_delay_alu instid0(VALU_DEP_1) | instskip(SKIP_1) | instid1(VALU_DEP_2)
	v_mul_lo_u32 v3, v2, s3
	v_add_nc_u32_e32 v8, 1, v2
	v_sub_nc_u32_e32 v3, v6, v3
	s_delay_alu instid0(VALU_DEP_1) | instskip(SKIP_1) | instid1(VALU_DEP_2)
	v_subrev_nc_u32_e32 v9, s3, v3
	v_cmp_le_u32_e32 vcc_lo, s3, v3
	v_dual_cndmask_b32 v3, v3, v9 :: v_dual_cndmask_b32 v2, v2, v8
	s_delay_alu instid0(VALU_DEP_1) | instskip(NEXT) | instid1(VALU_DEP_2)
	v_cmp_le_u32_e32 vcc_lo, s3, v3
	v_dual_mov_b32 v3, 0 :: v_dual_add_nc_u32 v8, 1, v2
	s_delay_alu instid0(VALU_DEP_1)
	v_cndmask_b32_e32 v2, v2, v8, vcc_lo
.LBB19_9:
	s_or_b32 exec_lo, exec_lo, s2
	s_delay_alu instid0(VALU_DEP_1) | instskip(NEXT) | instid1(VALU_DEP_2)
	v_mul_lo_u32 v11, s8, v2
	v_mul_lo_u32 v12, s3, v3
	v_mad_u64_u32 v[8:9], null, s3, v2, 0
	s_delay_alu instid0(VALU_DEP_1) | instskip(NEXT) | instid1(VALU_DEP_2)
	v_add3_u32 v9, v9, v12, v11
	v_sub_co_u32 v12, vcc_lo, v6, v8
	v_mov_b32_e32 v6, 0
	s_delay_alu instid0(VALU_DEP_3) | instskip(NEXT) | instid1(VALU_DEP_1)
	v_sub_co_ci_u32_e32 v13, vcc_lo, v7, v9, vcc_lo
	v_or_b32_e32 v7, s23, v13
	s_delay_alu instid0(VALU_DEP_1) | instskip(SKIP_1) | instid1(SALU_CYCLE_1)
	v_cmp_ne_u64_e32 vcc_lo, 0, v[6:7]
                                        ; implicit-def: $vgpr6_vgpr7
	s_and_saveexec_b32 s2, vcc_lo
	s_xor_b32 s3, exec_lo, s2
	s_cbranch_execz .LBB19_11
; %bb.10:
	s_ashr_i32 s4, s23, 31
	s_delay_alu instid0(SALU_CYCLE_1) | instskip(SKIP_2) | instid1(SALU_CYCLE_1)
	s_add_u32 s6, s22, s4
	s_mov_b32 s5, s4
	s_addc_u32 s7, s23, s4
	s_xor_b64 s[6:7], s[6:7], s[4:5]
	s_delay_alu instid0(SALU_CYCLE_1) | instskip(SKIP_3) | instid1(VALU_DEP_1)
	v_cvt_f32_u32_e32 v6, s6
	v_cvt_f32_u32_e32 v7, s7
	s_sub_u32 s2, 0, s6
	s_subb_u32 s5, 0, s7
	v_fmamk_f32 v6, v7, 0x4f800000, v6
	s_delay_alu instid0(VALU_DEP_1) | instskip(SKIP_2) | instid1(VALU_DEP_1)
	v_rcp_f32_e32 v6, v6
	s_waitcnt_depctr 0xfff
	v_mul_f32_e32 v6, 0x5f7ffffc, v6
	v_mul_f32_e32 v7, 0x2f800000, v6
	s_delay_alu instid0(VALU_DEP_1) | instskip(NEXT) | instid1(VALU_DEP_1)
	v_trunc_f32_e32 v7, v7
	v_fmamk_f32 v6, v7, 0xcf800000, v6
	v_cvt_u32_f32_e32 v7, v7
	s_delay_alu instid0(VALU_DEP_2) | instskip(NEXT) | instid1(VALU_DEP_2)
	v_cvt_u32_f32_e32 v6, v6
	v_mul_lo_u32 v8, s2, v7
	s_delay_alu instid0(VALU_DEP_2) | instskip(SKIP_1) | instid1(VALU_DEP_2)
	v_mul_hi_u32 v9, s2, v6
	v_mul_lo_u32 v11, s5, v6
	v_add_nc_u32_e32 v8, v9, v8
	v_mul_lo_u32 v9, s2, v6
	s_delay_alu instid0(VALU_DEP_2) | instskip(NEXT) | instid1(VALU_DEP_2)
	v_add_nc_u32_e32 v8, v8, v11
	v_mul_hi_u32 v11, v6, v9
	s_delay_alu instid0(VALU_DEP_2)
	v_mul_lo_u32 v14, v6, v8
	v_mul_hi_u32 v15, v6, v8
	v_mul_hi_u32 v16, v7, v9
	v_mul_lo_u32 v9, v7, v9
	v_mul_hi_u32 v17, v7, v8
	v_mul_lo_u32 v8, v7, v8
	v_add_co_u32 v11, vcc_lo, v11, v14
	v_add_co_ci_u32_e32 v14, vcc_lo, 0, v15, vcc_lo
	s_delay_alu instid0(VALU_DEP_2) | instskip(NEXT) | instid1(VALU_DEP_2)
	v_add_co_u32 v9, vcc_lo, v11, v9
	v_add_co_ci_u32_e32 v9, vcc_lo, v14, v16, vcc_lo
	v_add_co_ci_u32_e32 v11, vcc_lo, 0, v17, vcc_lo
	v_ashrrev_i32_e32 v16, 31, v13
	s_delay_alu instid0(VALU_DEP_3) | instskip(NEXT) | instid1(VALU_DEP_3)
	v_add_co_u32 v8, vcc_lo, v9, v8
	v_add_co_ci_u32_e32 v9, vcc_lo, 0, v11, vcc_lo
	s_delay_alu instid0(VALU_DEP_2) | instskip(NEXT) | instid1(VALU_DEP_2)
	v_add_co_u32 v6, vcc_lo, v6, v8
	v_add_co_ci_u32_e32 v7, vcc_lo, v7, v9, vcc_lo
	s_delay_alu instid0(VALU_DEP_2) | instskip(SKIP_1) | instid1(VALU_DEP_3)
	v_mul_hi_u32 v8, s2, v6
	v_mul_lo_u32 v11, s5, v6
	v_mul_lo_u32 v9, s2, v7
	s_delay_alu instid0(VALU_DEP_1) | instskip(SKIP_1) | instid1(VALU_DEP_2)
	v_add_nc_u32_e32 v8, v8, v9
	v_mul_lo_u32 v9, s2, v6
	v_add_nc_u32_e32 v8, v8, v11
	s_delay_alu instid0(VALU_DEP_2) | instskip(NEXT) | instid1(VALU_DEP_2)
	v_mul_hi_u32 v11, v6, v9
	v_mul_lo_u32 v14, v6, v8
	v_mul_hi_u32 v15, v6, v8
	v_mul_hi_u32 v17, v7, v9
	v_mul_lo_u32 v9, v7, v9
	v_mul_hi_u32 v18, v7, v8
	v_mul_lo_u32 v8, v7, v8
	v_add_co_u32 v11, vcc_lo, v11, v14
	v_add_co_ci_u32_e32 v14, vcc_lo, 0, v15, vcc_lo
	s_delay_alu instid0(VALU_DEP_2) | instskip(NEXT) | instid1(VALU_DEP_2)
	v_add_co_u32 v9, vcc_lo, v11, v9
	v_add_co_ci_u32_e32 v9, vcc_lo, v14, v17, vcc_lo
	v_add_co_ci_u32_e32 v11, vcc_lo, 0, v18, vcc_lo
	v_add_co_u32 v14, vcc_lo, v12, v16
	v_add_co_ci_u32_e32 v15, vcc_lo, v13, v16, vcc_lo
	s_delay_alu instid0(VALU_DEP_4) | instskip(NEXT) | instid1(VALU_DEP_4)
	v_add_co_u32 v8, vcc_lo, v9, v8
	v_add_co_ci_u32_e32 v9, vcc_lo, 0, v11, vcc_lo
	s_delay_alu instid0(VALU_DEP_4) | instskip(NEXT) | instid1(VALU_DEP_3)
	v_xor_b32_e32 v11, v14, v16
	v_add_co_u32 v14, vcc_lo, v6, v8
	s_delay_alu instid0(VALU_DEP_3) | instskip(SKIP_1) | instid1(VALU_DEP_3)
	v_add_co_ci_u32_e32 v17, vcc_lo, v7, v9, vcc_lo
	v_xor_b32_e32 v18, v15, v16
	v_mul_hi_u32 v19, v11, v14
	s_delay_alu instid0(VALU_DEP_3) | instskip(NEXT) | instid1(VALU_DEP_3)
	v_mad_u64_u32 v[6:7], null, v11, v17, 0
	v_mad_u64_u32 v[8:9], null, v18, v14, 0
	;; [unrolled: 1-line block ×3, first 2 shown]
	s_delay_alu instid0(VALU_DEP_3) | instskip(NEXT) | instid1(VALU_DEP_4)
	v_add_co_u32 v6, vcc_lo, v19, v6
	v_add_co_ci_u32_e32 v7, vcc_lo, 0, v7, vcc_lo
	s_delay_alu instid0(VALU_DEP_2) | instskip(NEXT) | instid1(VALU_DEP_2)
	v_add_co_u32 v6, vcc_lo, v6, v8
	v_add_co_ci_u32_e32 v6, vcc_lo, v7, v9, vcc_lo
	v_add_co_ci_u32_e32 v7, vcc_lo, 0, v15, vcc_lo
	s_delay_alu instid0(VALU_DEP_2) | instskip(NEXT) | instid1(VALU_DEP_2)
	v_add_co_u32 v8, vcc_lo, v6, v14
	v_add_co_ci_u32_e32 v9, vcc_lo, 0, v7, vcc_lo
	s_delay_alu instid0(VALU_DEP_2) | instskip(SKIP_1) | instid1(VALU_DEP_3)
	v_mul_lo_u32 v14, s7, v8
	v_mad_u64_u32 v[6:7], null, s6, v8, 0
	v_mul_lo_u32 v15, s6, v9
	s_delay_alu instid0(VALU_DEP_2) | instskip(NEXT) | instid1(VALU_DEP_2)
	v_sub_co_u32 v6, vcc_lo, v11, v6
	v_add3_u32 v7, v7, v15, v14
	s_delay_alu instid0(VALU_DEP_1) | instskip(NEXT) | instid1(VALU_DEP_1)
	v_sub_nc_u32_e32 v14, v18, v7
	v_subrev_co_ci_u32_e64 v11, s2, s7, v14, vcc_lo
	v_add_co_u32 v14, s2, v8, 2
	s_delay_alu instid0(VALU_DEP_1) | instskip(SKIP_3) | instid1(VALU_DEP_3)
	v_add_co_ci_u32_e64 v15, s2, 0, v9, s2
	v_sub_co_u32 v17, s2, v6, s6
	v_sub_co_ci_u32_e32 v7, vcc_lo, v18, v7, vcc_lo
	v_subrev_co_ci_u32_e64 v11, s2, 0, v11, s2
	v_cmp_le_u32_e32 vcc_lo, s6, v17
	s_delay_alu instid0(VALU_DEP_3) | instskip(SKIP_1) | instid1(VALU_DEP_4)
	v_cmp_eq_u32_e64 s2, s7, v7
	v_cndmask_b32_e64 v17, 0, -1, vcc_lo
	v_cmp_le_u32_e32 vcc_lo, s7, v11
	v_cndmask_b32_e64 v18, 0, -1, vcc_lo
	v_cmp_le_u32_e32 vcc_lo, s6, v6
	;; [unrolled: 2-line block ×3, first 2 shown]
	v_cndmask_b32_e64 v19, 0, -1, vcc_lo
	v_cmp_eq_u32_e32 vcc_lo, s7, v11
	s_delay_alu instid0(VALU_DEP_2) | instskip(SKIP_3) | instid1(VALU_DEP_3)
	v_cndmask_b32_e64 v6, v19, v6, s2
	v_cndmask_b32_e32 v11, v18, v17, vcc_lo
	v_add_co_u32 v17, vcc_lo, v8, 1
	v_add_co_ci_u32_e32 v18, vcc_lo, 0, v9, vcc_lo
	v_cmp_ne_u32_e32 vcc_lo, 0, v11
	s_delay_alu instid0(VALU_DEP_3) | instskip(NEXT) | instid1(VALU_DEP_3)
	v_cndmask_b32_e32 v11, v17, v14, vcc_lo
	v_cndmask_b32_e32 v7, v18, v15, vcc_lo
	v_cmp_ne_u32_e32 vcc_lo, 0, v6
	v_xor_b32_e32 v14, s4, v16
	s_delay_alu instid0(VALU_DEP_3) | instskip(SKIP_1) | instid1(VALU_DEP_2)
	v_cndmask_b32_e32 v6, v9, v7, vcc_lo
	v_cndmask_b32_e32 v7, v8, v11, vcc_lo
	v_xor_b32_e32 v8, v6, v14
	s_delay_alu instid0(VALU_DEP_2) | instskip(NEXT) | instid1(VALU_DEP_1)
	v_xor_b32_e32 v7, v7, v14
	v_sub_co_u32 v6, vcc_lo, v7, v14
	s_delay_alu instid0(VALU_DEP_3)
	v_sub_co_ci_u32_e32 v7, vcc_lo, v8, v14, vcc_lo
.LBB19_11:
	s_and_not1_saveexec_b32 s2, s3
	s_cbranch_execz .LBB19_13
; %bb.12:
	v_cvt_f32_u32_e32 v6, s22
	s_sub_i32 s3, 0, s22
	s_delay_alu instid0(VALU_DEP_1) | instskip(SKIP_2) | instid1(VALU_DEP_1)
	v_rcp_iflag_f32_e32 v6, v6
	s_waitcnt_depctr 0xfff
	v_mul_f32_e32 v6, 0x4f7ffffe, v6
	v_cvt_u32_f32_e32 v6, v6
	s_delay_alu instid0(VALU_DEP_1) | instskip(NEXT) | instid1(VALU_DEP_1)
	v_mul_lo_u32 v7, s3, v6
	v_mul_hi_u32 v7, v6, v7
	s_delay_alu instid0(VALU_DEP_1) | instskip(NEXT) | instid1(VALU_DEP_1)
	v_add_nc_u32_e32 v6, v6, v7
	v_mul_hi_u32 v6, v12, v6
	s_delay_alu instid0(VALU_DEP_1) | instskip(SKIP_1) | instid1(VALU_DEP_2)
	v_mul_lo_u32 v7, v6, s22
	v_add_nc_u32_e32 v8, 1, v6
	v_sub_nc_u32_e32 v7, v12, v7
	s_delay_alu instid0(VALU_DEP_1) | instskip(SKIP_1) | instid1(VALU_DEP_2)
	v_subrev_nc_u32_e32 v9, s22, v7
	v_cmp_le_u32_e32 vcc_lo, s22, v7
	v_dual_cndmask_b32 v7, v7, v9 :: v_dual_cndmask_b32 v6, v6, v8
	s_delay_alu instid0(VALU_DEP_1) | instskip(NEXT) | instid1(VALU_DEP_2)
	v_cmp_le_u32_e32 vcc_lo, s22, v7
	v_dual_mov_b32 v7, 0 :: v_dual_add_nc_u32 v8, 1, v6
	s_delay_alu instid0(VALU_DEP_1)
	v_cndmask_b32_e32 v6, v6, v8, vcc_lo
.LBB19_13:
	s_or_b32 exec_lo, exec_lo, s2
	s_load_b512 s[36:51], s[0:1], 0x40
	v_mov_b32_e32 v8, 0
	s_waitcnt lgkmcnt(0)
	s_mul_i32 s2, s42, s41
	s_mul_hi_u32 s4, s42, s40
	s_mul_i32 s5, s43, s40
	s_mul_i32 s3, s42, s40
	s_add_i32 s8, s4, s2
	s_mul_i32 s2, s3, s45
	s_mul_hi_u32 s4, s3, s44
	s_add_i32 s8, s8, s5
	s_add_i32 s2, s4, s2
	s_mul_i32 s4, s8, s44
	s_mul_i32 s10, s3, s44
	s_add_i32 s9, s2, s4
	s_delay_alu instid0(SALU_CYCLE_1) | instskip(NEXT) | instid1(VALU_DEP_1)
	v_or_b32_e32 v9, s9, v5
	v_cmp_ne_u64_e32 vcc_lo, 0, v[8:9]
                                        ; implicit-def: $vgpr8_vgpr9
	s_and_saveexec_b32 s2, vcc_lo
	s_delay_alu instid0(SALU_CYCLE_1)
	s_xor_b32 s11, exec_lo, s2
	s_cbranch_execz .LBB19_15
; %bb.14:
	s_ashr_i32 s4, s9, 31
	s_delay_alu instid0(SALU_CYCLE_1) | instskip(SKIP_2) | instid1(SALU_CYCLE_1)
	s_add_u32 s6, s10, s4
	s_mov_b32 s5, s4
	s_addc_u32 s7, s9, s4
	s_xor_b64 s[6:7], s[6:7], s[4:5]
	s_delay_alu instid0(SALU_CYCLE_1) | instskip(SKIP_3) | instid1(VALU_DEP_1)
	v_cvt_f32_u32_e32 v8, s6
	v_cvt_f32_u32_e32 v9, s7
	s_sub_u32 s2, 0, s6
	s_subb_u32 s5, 0, s7
	v_fmamk_f32 v8, v9, 0x4f800000, v8
	s_delay_alu instid0(VALU_DEP_1) | instskip(SKIP_2) | instid1(VALU_DEP_1)
	v_rcp_f32_e32 v8, v8
	s_waitcnt_depctr 0xfff
	v_mul_f32_e32 v8, 0x5f7ffffc, v8
	v_mul_f32_e32 v9, 0x2f800000, v8
	s_delay_alu instid0(VALU_DEP_1) | instskip(NEXT) | instid1(VALU_DEP_1)
	v_trunc_f32_e32 v9, v9
	v_fmamk_f32 v8, v9, 0xcf800000, v8
	v_cvt_u32_f32_e32 v9, v9
	s_delay_alu instid0(VALU_DEP_2) | instskip(NEXT) | instid1(VALU_DEP_2)
	v_cvt_u32_f32_e32 v8, v8
	v_mul_lo_u32 v11, s2, v9
	s_delay_alu instid0(VALU_DEP_2) | instskip(SKIP_1) | instid1(VALU_DEP_2)
	v_mul_hi_u32 v14, s2, v8
	v_mul_lo_u32 v15, s5, v8
	v_add_nc_u32_e32 v11, v14, v11
	v_mul_lo_u32 v14, s2, v8
	s_delay_alu instid0(VALU_DEP_2) | instskip(NEXT) | instid1(VALU_DEP_2)
	v_add_nc_u32_e32 v11, v11, v15
	v_mul_hi_u32 v15, v8, v14
	s_delay_alu instid0(VALU_DEP_2)
	v_mul_lo_u32 v16, v8, v11
	v_mul_hi_u32 v17, v8, v11
	v_mul_hi_u32 v18, v9, v14
	v_mul_lo_u32 v14, v9, v14
	v_mul_hi_u32 v19, v9, v11
	v_mul_lo_u32 v11, v9, v11
	v_add_co_u32 v15, vcc_lo, v15, v16
	v_add_co_ci_u32_e32 v16, vcc_lo, 0, v17, vcc_lo
	s_delay_alu instid0(VALU_DEP_2) | instskip(NEXT) | instid1(VALU_DEP_2)
	v_add_co_u32 v14, vcc_lo, v15, v14
	v_add_co_ci_u32_e32 v14, vcc_lo, v16, v18, vcc_lo
	v_add_co_ci_u32_e32 v15, vcc_lo, 0, v19, vcc_lo
	s_delay_alu instid0(VALU_DEP_2) | instskip(NEXT) | instid1(VALU_DEP_2)
	v_add_co_u32 v11, vcc_lo, v14, v11
	v_add_co_ci_u32_e32 v14, vcc_lo, 0, v15, vcc_lo
	s_delay_alu instid0(VALU_DEP_2) | instskip(NEXT) | instid1(VALU_DEP_2)
	v_add_co_u32 v8, vcc_lo, v8, v11
	v_add_co_ci_u32_e32 v9, vcc_lo, v9, v14, vcc_lo
	s_delay_alu instid0(VALU_DEP_2) | instskip(SKIP_1) | instid1(VALU_DEP_3)
	v_mul_hi_u32 v11, s2, v8
	v_mul_lo_u32 v15, s5, v8
	v_mul_lo_u32 v14, s2, v9
	s_delay_alu instid0(VALU_DEP_1) | instskip(SKIP_1) | instid1(VALU_DEP_2)
	v_add_nc_u32_e32 v11, v11, v14
	v_mul_lo_u32 v14, s2, v8
	v_add_nc_u32_e32 v11, v11, v15
	s_delay_alu instid0(VALU_DEP_2) | instskip(NEXT) | instid1(VALU_DEP_2)
	v_mul_hi_u32 v15, v8, v14
	v_mul_lo_u32 v16, v8, v11
	v_mul_hi_u32 v17, v8, v11
	v_mul_hi_u32 v18, v9, v14
	v_mul_lo_u32 v14, v9, v14
	v_mul_hi_u32 v19, v9, v11
	v_mul_lo_u32 v11, v9, v11
	v_add_co_u32 v15, vcc_lo, v15, v16
	v_add_co_ci_u32_e32 v16, vcc_lo, 0, v17, vcc_lo
	s_delay_alu instid0(VALU_DEP_2) | instskip(NEXT) | instid1(VALU_DEP_2)
	v_add_co_u32 v14, vcc_lo, v15, v14
	v_add_co_ci_u32_e32 v14, vcc_lo, v16, v18, vcc_lo
	v_add_co_ci_u32_e32 v15, vcc_lo, 0, v19, vcc_lo
	v_add_co_u32 v16, vcc_lo, v4, v10
	v_add_co_ci_u32_e32 v17, vcc_lo, v5, v10, vcc_lo
	s_delay_alu instid0(VALU_DEP_4) | instskip(NEXT) | instid1(VALU_DEP_4)
	v_add_co_u32 v11, vcc_lo, v14, v11
	v_add_co_ci_u32_e32 v14, vcc_lo, 0, v15, vcc_lo
	s_delay_alu instid0(VALU_DEP_4) | instskip(NEXT) | instid1(VALU_DEP_3)
	v_xor_b32_e32 v18, v16, v10
	v_add_co_u32 v11, vcc_lo, v8, v11
	s_delay_alu instid0(VALU_DEP_3) | instskip(SKIP_1) | instid1(VALU_DEP_3)
	v_add_co_ci_u32_e32 v19, vcc_lo, v9, v14, vcc_lo
	v_xor_b32_e32 v20, v17, v10
	v_mul_hi_u32 v21, v18, v11
	v_xor_b32_e32 v10, s4, v10
	s_delay_alu instid0(VALU_DEP_4) | instskip(NEXT) | instid1(VALU_DEP_4)
	v_mad_u64_u32 v[8:9], null, v18, v19, 0
	v_mad_u64_u32 v[14:15], null, v20, v11, 0
	;; [unrolled: 1-line block ×3, first 2 shown]
	s_delay_alu instid0(VALU_DEP_3) | instskip(NEXT) | instid1(VALU_DEP_4)
	v_add_co_u32 v8, vcc_lo, v21, v8
	v_add_co_ci_u32_e32 v9, vcc_lo, 0, v9, vcc_lo
	s_delay_alu instid0(VALU_DEP_2) | instskip(NEXT) | instid1(VALU_DEP_2)
	v_add_co_u32 v8, vcc_lo, v8, v14
	v_add_co_ci_u32_e32 v8, vcc_lo, v9, v15, vcc_lo
	v_add_co_ci_u32_e32 v9, vcc_lo, 0, v17, vcc_lo
	s_delay_alu instid0(VALU_DEP_2) | instskip(NEXT) | instid1(VALU_DEP_2)
	v_add_co_u32 v11, vcc_lo, v8, v16
	v_add_co_ci_u32_e32 v14, vcc_lo, 0, v9, vcc_lo
	s_delay_alu instid0(VALU_DEP_2) | instskip(SKIP_1) | instid1(VALU_DEP_3)
	v_mul_lo_u32 v15, s7, v11
	v_mad_u64_u32 v[8:9], null, s6, v11, 0
	v_mul_lo_u32 v16, s6, v14
	s_delay_alu instid0(VALU_DEP_2) | instskip(NEXT) | instid1(VALU_DEP_2)
	v_sub_co_u32 v8, vcc_lo, v18, v8
	v_add3_u32 v9, v9, v16, v15
	s_delay_alu instid0(VALU_DEP_1) | instskip(NEXT) | instid1(VALU_DEP_1)
	v_sub_nc_u32_e32 v15, v20, v9
	v_subrev_co_ci_u32_e64 v15, s2, s7, v15, vcc_lo
	v_add_co_u32 v16, s2, v11, 2
	s_delay_alu instid0(VALU_DEP_1) | instskip(SKIP_3) | instid1(VALU_DEP_3)
	v_add_co_ci_u32_e64 v17, s2, 0, v14, s2
	v_sub_co_u32 v18, s2, v8, s6
	v_sub_co_ci_u32_e32 v9, vcc_lo, v20, v9, vcc_lo
	v_subrev_co_ci_u32_e64 v15, s2, 0, v15, s2
	v_cmp_le_u32_e32 vcc_lo, s6, v18
	s_delay_alu instid0(VALU_DEP_3) | instskip(SKIP_1) | instid1(VALU_DEP_4)
	v_cmp_eq_u32_e64 s2, s7, v9
	v_cndmask_b32_e64 v18, 0, -1, vcc_lo
	v_cmp_le_u32_e32 vcc_lo, s7, v15
	v_cndmask_b32_e64 v19, 0, -1, vcc_lo
	v_cmp_le_u32_e32 vcc_lo, s6, v8
	;; [unrolled: 2-line block ×3, first 2 shown]
	v_cndmask_b32_e64 v20, 0, -1, vcc_lo
	v_cmp_eq_u32_e32 vcc_lo, s7, v15
	s_delay_alu instid0(VALU_DEP_2) | instskip(SKIP_3) | instid1(VALU_DEP_3)
	v_cndmask_b32_e64 v8, v20, v8, s2
	v_cndmask_b32_e32 v15, v19, v18, vcc_lo
	v_add_co_u32 v18, vcc_lo, v11, 1
	v_add_co_ci_u32_e32 v19, vcc_lo, 0, v14, vcc_lo
	v_cmp_ne_u32_e32 vcc_lo, 0, v15
	s_delay_alu instid0(VALU_DEP_2) | instskip(NEXT) | instid1(VALU_DEP_4)
	v_cndmask_b32_e32 v9, v19, v17, vcc_lo
	v_cndmask_b32_e32 v15, v18, v16, vcc_lo
	v_cmp_ne_u32_e32 vcc_lo, 0, v8
	s_delay_alu instid0(VALU_DEP_2) | instskip(NEXT) | instid1(VALU_DEP_1)
	v_dual_cndmask_b32 v8, v14, v9 :: v_dual_cndmask_b32 v9, v11, v15
	v_xor_b32_e32 v11, v8, v10
	s_delay_alu instid0(VALU_DEP_2) | instskip(NEXT) | instid1(VALU_DEP_1)
	v_xor_b32_e32 v9, v9, v10
	v_sub_co_u32 v8, vcc_lo, v9, v10
	s_delay_alu instid0(VALU_DEP_3)
	v_sub_co_ci_u32_e32 v9, vcc_lo, v11, v10, vcc_lo
.LBB19_15:
	s_and_not1_saveexec_b32 s2, s11
	s_cbranch_execz .LBB19_17
; %bb.16:
	v_cvt_f32_u32_e32 v8, s10
	s_sub_i32 s4, 0, s10
	s_delay_alu instid0(VALU_DEP_1) | instskip(SKIP_2) | instid1(VALU_DEP_1)
	v_rcp_iflag_f32_e32 v8, v8
	s_waitcnt_depctr 0xfff
	v_mul_f32_e32 v8, 0x4f7ffffe, v8
	v_cvt_u32_f32_e32 v8, v8
	s_delay_alu instid0(VALU_DEP_1) | instskip(NEXT) | instid1(VALU_DEP_1)
	v_mul_lo_u32 v9, s4, v8
	v_mul_hi_u32 v9, v8, v9
	s_delay_alu instid0(VALU_DEP_1) | instskip(NEXT) | instid1(VALU_DEP_1)
	v_add_nc_u32_e32 v8, v8, v9
	v_mul_hi_u32 v8, v4, v8
	s_delay_alu instid0(VALU_DEP_1) | instskip(SKIP_1) | instid1(VALU_DEP_2)
	v_mul_lo_u32 v9, v8, s10
	v_add_nc_u32_e32 v10, 1, v8
	v_sub_nc_u32_e32 v9, v4, v9
	s_delay_alu instid0(VALU_DEP_1) | instskip(SKIP_1) | instid1(VALU_DEP_2)
	v_subrev_nc_u32_e32 v11, s10, v9
	v_cmp_le_u32_e32 vcc_lo, s10, v9
	v_dual_cndmask_b32 v9, v9, v11 :: v_dual_cndmask_b32 v8, v8, v10
	s_delay_alu instid0(VALU_DEP_1) | instskip(NEXT) | instid1(VALU_DEP_2)
	v_cmp_le_u32_e32 vcc_lo, s10, v9
	v_dual_mov_b32 v9, 0 :: v_dual_add_nc_u32 v10, 1, v8
	s_delay_alu instid0(VALU_DEP_1)
	v_cndmask_b32_e32 v8, v8, v10, vcc_lo
.LBB19_17:
	s_or_b32 exec_lo, exec_lo, s2
	s_delay_alu instid0(VALU_DEP_1) | instskip(NEXT) | instid1(VALU_DEP_2)
	v_mul_lo_u32 v14, s9, v8
	v_mul_lo_u32 v15, s10, v9
	v_mad_u64_u32 v[10:11], null, s10, v8, 0
	s_delay_alu instid0(VALU_DEP_1) | instskip(NEXT) | instid1(VALU_DEP_2)
	v_add3_u32 v11, v11, v15, v14
	v_sub_co_u32 v10, vcc_lo, v4, v10
	v_mov_b32_e32 v4, 0
	s_delay_alu instid0(VALU_DEP_3) | instskip(NEXT) | instid1(VALU_DEP_1)
	v_sub_co_ci_u32_e32 v11, vcc_lo, v5, v11, vcc_lo
	v_or_b32_e32 v5, s8, v11
	s_delay_alu instid0(VALU_DEP_1) | instskip(SKIP_1) | instid1(SALU_CYCLE_1)
	v_cmp_ne_u64_e32 vcc_lo, 0, v[4:5]
                                        ; implicit-def: $vgpr4_vgpr5
	s_and_saveexec_b32 s2, vcc_lo
	s_xor_b32 s9, exec_lo, s2
	s_cbranch_execz .LBB19_19
; %bb.18:
	s_ashr_i32 s4, s8, 31
	s_delay_alu instid0(SALU_CYCLE_1) | instskip(SKIP_2) | instid1(SALU_CYCLE_1)
	s_add_u32 s6, s3, s4
	s_mov_b32 s5, s4
	s_addc_u32 s7, s8, s4
	s_xor_b64 s[6:7], s[6:7], s[4:5]
	s_delay_alu instid0(SALU_CYCLE_1) | instskip(SKIP_3) | instid1(VALU_DEP_1)
	v_cvt_f32_u32_e32 v4, s6
	v_cvt_f32_u32_e32 v5, s7
	s_sub_u32 s2, 0, s6
	s_subb_u32 s5, 0, s7
	v_fmamk_f32 v4, v5, 0x4f800000, v4
	s_delay_alu instid0(VALU_DEP_1) | instskip(SKIP_2) | instid1(VALU_DEP_1)
	v_rcp_f32_e32 v4, v4
	s_waitcnt_depctr 0xfff
	v_mul_f32_e32 v4, 0x5f7ffffc, v4
	v_mul_f32_e32 v5, 0x2f800000, v4
	s_delay_alu instid0(VALU_DEP_1) | instskip(NEXT) | instid1(VALU_DEP_1)
	v_trunc_f32_e32 v5, v5
	v_fmamk_f32 v4, v5, 0xcf800000, v4
	v_cvt_u32_f32_e32 v5, v5
	s_delay_alu instid0(VALU_DEP_2) | instskip(NEXT) | instid1(VALU_DEP_2)
	v_cvt_u32_f32_e32 v4, v4
	v_mul_lo_u32 v14, s2, v5
	s_delay_alu instid0(VALU_DEP_2) | instskip(SKIP_1) | instid1(VALU_DEP_2)
	v_mul_hi_u32 v15, s2, v4
	v_mul_lo_u32 v16, s5, v4
	v_add_nc_u32_e32 v14, v15, v14
	v_mul_lo_u32 v15, s2, v4
	s_delay_alu instid0(VALU_DEP_2) | instskip(NEXT) | instid1(VALU_DEP_2)
	v_add_nc_u32_e32 v14, v14, v16
	v_mul_hi_u32 v16, v4, v15
	s_delay_alu instid0(VALU_DEP_2)
	v_mul_lo_u32 v17, v4, v14
	v_mul_hi_u32 v18, v4, v14
	v_mul_hi_u32 v19, v5, v15
	v_mul_lo_u32 v15, v5, v15
	v_mul_hi_u32 v20, v5, v14
	v_mul_lo_u32 v14, v5, v14
	v_add_co_u32 v16, vcc_lo, v16, v17
	v_add_co_ci_u32_e32 v17, vcc_lo, 0, v18, vcc_lo
	s_delay_alu instid0(VALU_DEP_2) | instskip(NEXT) | instid1(VALU_DEP_2)
	v_add_co_u32 v15, vcc_lo, v16, v15
	v_add_co_ci_u32_e32 v15, vcc_lo, v17, v19, vcc_lo
	v_add_co_ci_u32_e32 v16, vcc_lo, 0, v20, vcc_lo
	v_ashrrev_i32_e32 v19, 31, v11
	s_delay_alu instid0(VALU_DEP_3) | instskip(NEXT) | instid1(VALU_DEP_3)
	v_add_co_u32 v14, vcc_lo, v15, v14
	v_add_co_ci_u32_e32 v15, vcc_lo, 0, v16, vcc_lo
	s_delay_alu instid0(VALU_DEP_2) | instskip(NEXT) | instid1(VALU_DEP_2)
	v_add_co_u32 v4, vcc_lo, v4, v14
	v_add_co_ci_u32_e32 v5, vcc_lo, v5, v15, vcc_lo
	s_delay_alu instid0(VALU_DEP_2) | instskip(SKIP_1) | instid1(VALU_DEP_3)
	v_mul_hi_u32 v14, s2, v4
	v_mul_lo_u32 v16, s5, v4
	v_mul_lo_u32 v15, s2, v5
	s_delay_alu instid0(VALU_DEP_1) | instskip(SKIP_1) | instid1(VALU_DEP_2)
	v_add_nc_u32_e32 v14, v14, v15
	v_mul_lo_u32 v15, s2, v4
	v_add_nc_u32_e32 v14, v14, v16
	s_delay_alu instid0(VALU_DEP_2) | instskip(NEXT) | instid1(VALU_DEP_2)
	v_mul_hi_u32 v16, v4, v15
	v_mul_lo_u32 v17, v4, v14
	v_mul_hi_u32 v18, v4, v14
	v_mul_hi_u32 v20, v5, v15
	v_mul_lo_u32 v15, v5, v15
	v_mul_hi_u32 v21, v5, v14
	v_mul_lo_u32 v14, v5, v14
	v_add_co_u32 v16, vcc_lo, v16, v17
	v_add_co_ci_u32_e32 v17, vcc_lo, 0, v18, vcc_lo
	s_delay_alu instid0(VALU_DEP_2) | instskip(NEXT) | instid1(VALU_DEP_2)
	v_add_co_u32 v15, vcc_lo, v16, v15
	v_add_co_ci_u32_e32 v15, vcc_lo, v17, v20, vcc_lo
	v_add_co_ci_u32_e32 v16, vcc_lo, 0, v21, vcc_lo
	v_add_co_u32 v17, vcc_lo, v10, v19
	v_add_co_ci_u32_e32 v18, vcc_lo, v11, v19, vcc_lo
	s_delay_alu instid0(VALU_DEP_4) | instskip(NEXT) | instid1(VALU_DEP_4)
	v_add_co_u32 v14, vcc_lo, v15, v14
	v_add_co_ci_u32_e32 v15, vcc_lo, 0, v16, vcc_lo
	s_delay_alu instid0(VALU_DEP_4) | instskip(NEXT) | instid1(VALU_DEP_3)
	v_xor_b32_e32 v20, v17, v19
	v_add_co_u32 v16, vcc_lo, v4, v14
	s_delay_alu instid0(VALU_DEP_3) | instskip(SKIP_1) | instid1(VALU_DEP_3)
	v_add_co_ci_u32_e32 v21, vcc_lo, v5, v15, vcc_lo
	v_xor_b32_e32 v18, v18, v19
	v_mul_hi_u32 v22, v20, v16
	s_delay_alu instid0(VALU_DEP_3) | instskip(NEXT) | instid1(VALU_DEP_3)
	v_mad_u64_u32 v[4:5], null, v20, v21, 0
	v_mad_u64_u32 v[14:15], null, v18, v16, 0
	;; [unrolled: 1-line block ×3, first 2 shown]
	s_delay_alu instid0(VALU_DEP_3) | instskip(NEXT) | instid1(VALU_DEP_4)
	v_add_co_u32 v4, vcc_lo, v22, v4
	v_add_co_ci_u32_e32 v5, vcc_lo, 0, v5, vcc_lo
	s_delay_alu instid0(VALU_DEP_2) | instskip(NEXT) | instid1(VALU_DEP_2)
	v_add_co_u32 v4, vcc_lo, v4, v14
	v_add_co_ci_u32_e32 v4, vcc_lo, v5, v15, vcc_lo
	v_add_co_ci_u32_e32 v5, vcc_lo, 0, v17, vcc_lo
	s_delay_alu instid0(VALU_DEP_2) | instskip(NEXT) | instid1(VALU_DEP_2)
	v_add_co_u32 v14, vcc_lo, v4, v16
	v_add_co_ci_u32_e32 v15, vcc_lo, 0, v5, vcc_lo
	s_delay_alu instid0(VALU_DEP_2) | instskip(SKIP_1) | instid1(VALU_DEP_3)
	v_mul_lo_u32 v16, s7, v14
	v_mad_u64_u32 v[4:5], null, s6, v14, 0
	v_mul_lo_u32 v17, s6, v15
	s_delay_alu instid0(VALU_DEP_2) | instskip(NEXT) | instid1(VALU_DEP_2)
	v_sub_co_u32 v4, vcc_lo, v20, v4
	v_add3_u32 v5, v5, v17, v16
	s_delay_alu instid0(VALU_DEP_1) | instskip(NEXT) | instid1(VALU_DEP_1)
	v_sub_nc_u32_e32 v16, v18, v5
	v_subrev_co_ci_u32_e64 v16, s2, s7, v16, vcc_lo
	v_add_co_u32 v17, s2, v14, 2
	s_delay_alu instid0(VALU_DEP_1) | instskip(SKIP_3) | instid1(VALU_DEP_3)
	v_add_co_ci_u32_e64 v20, s2, 0, v15, s2
	v_sub_co_u32 v21, s2, v4, s6
	v_sub_co_ci_u32_e32 v5, vcc_lo, v18, v5, vcc_lo
	v_subrev_co_ci_u32_e64 v16, s2, 0, v16, s2
	v_cmp_le_u32_e32 vcc_lo, s6, v21
	s_delay_alu instid0(VALU_DEP_3) | instskip(SKIP_1) | instid1(VALU_DEP_4)
	v_cmp_eq_u32_e64 s2, s7, v5
	v_cndmask_b32_e64 v18, 0, -1, vcc_lo
	v_cmp_le_u32_e32 vcc_lo, s7, v16
	v_cndmask_b32_e64 v21, 0, -1, vcc_lo
	v_cmp_le_u32_e32 vcc_lo, s6, v4
	;; [unrolled: 2-line block ×3, first 2 shown]
	v_cndmask_b32_e64 v22, 0, -1, vcc_lo
	v_cmp_eq_u32_e32 vcc_lo, s7, v16
	s_delay_alu instid0(VALU_DEP_2) | instskip(SKIP_3) | instid1(VALU_DEP_3)
	v_cndmask_b32_e64 v4, v22, v4, s2
	v_cndmask_b32_e32 v16, v21, v18, vcc_lo
	v_add_co_u32 v18, vcc_lo, v14, 1
	v_add_co_ci_u32_e32 v21, vcc_lo, 0, v15, vcc_lo
	v_cmp_ne_u32_e32 vcc_lo, 0, v16
	s_delay_alu instid0(VALU_DEP_2) | instskip(SKIP_2) | instid1(VALU_DEP_3)
	v_dual_cndmask_b32 v5, v21, v20 :: v_dual_cndmask_b32 v16, v18, v17
	v_cmp_ne_u32_e32 vcc_lo, 0, v4
	v_xor_b32_e32 v17, s4, v19
	v_dual_cndmask_b32 v4, v15, v5 :: v_dual_cndmask_b32 v5, v14, v16
	s_delay_alu instid0(VALU_DEP_1) | instskip(NEXT) | instid1(VALU_DEP_2)
	v_xor_b32_e32 v14, v4, v17
	v_xor_b32_e32 v5, v5, v17
	s_delay_alu instid0(VALU_DEP_1) | instskip(NEXT) | instid1(VALU_DEP_3)
	v_sub_co_u32 v4, vcc_lo, v5, v17
	v_sub_co_ci_u32_e32 v5, vcc_lo, v14, v17, vcc_lo
.LBB19_19:
	s_and_not1_saveexec_b32 s2, s9
	s_cbranch_execz .LBB19_21
; %bb.20:
	v_cvt_f32_u32_e32 v4, s3
	s_sub_i32 s4, 0, s3
	s_delay_alu instid0(VALU_DEP_1) | instskip(SKIP_2) | instid1(VALU_DEP_1)
	v_rcp_iflag_f32_e32 v4, v4
	s_waitcnt_depctr 0xfff
	v_mul_f32_e32 v4, 0x4f7ffffe, v4
	v_cvt_u32_f32_e32 v4, v4
	s_delay_alu instid0(VALU_DEP_1) | instskip(NEXT) | instid1(VALU_DEP_1)
	v_mul_lo_u32 v5, s4, v4
	v_mul_hi_u32 v5, v4, v5
	s_delay_alu instid0(VALU_DEP_1) | instskip(NEXT) | instid1(VALU_DEP_1)
	v_add_nc_u32_e32 v4, v4, v5
	v_mul_hi_u32 v4, v10, v4
	s_delay_alu instid0(VALU_DEP_1) | instskip(SKIP_1) | instid1(VALU_DEP_2)
	v_mul_lo_u32 v5, v4, s3
	v_add_nc_u32_e32 v14, 1, v4
	v_sub_nc_u32_e32 v5, v10, v5
	s_delay_alu instid0(VALU_DEP_1) | instskip(SKIP_1) | instid1(VALU_DEP_2)
	v_subrev_nc_u32_e32 v15, s3, v5
	v_cmp_le_u32_e32 vcc_lo, s3, v5
	v_dual_cndmask_b32 v5, v5, v15 :: v_dual_cndmask_b32 v4, v4, v14
	s_delay_alu instid0(VALU_DEP_1) | instskip(NEXT) | instid1(VALU_DEP_2)
	v_cmp_le_u32_e32 vcc_lo, s3, v5
	v_dual_mov_b32 v5, 0 :: v_dual_add_nc_u32 v14, 1, v4
	s_delay_alu instid0(VALU_DEP_1)
	v_cndmask_b32_e32 v4, v4, v14, vcc_lo
.LBB19_21:
	s_or_b32 exec_lo, exec_lo, s2
	s_delay_alu instid0(VALU_DEP_1) | instskip(NEXT) | instid1(VALU_DEP_2)
	v_mul_lo_u32 v16, s8, v4
	v_mul_lo_u32 v17, s3, v5
	v_mad_u64_u32 v[14:15], null, s3, v4, 0
	s_delay_alu instid0(VALU_DEP_1) | instskip(NEXT) | instid1(VALU_DEP_2)
	v_add3_u32 v15, v15, v17, v16
	v_sub_co_u32 v14, vcc_lo, v10, v14
	v_mov_b32_e32 v10, 0
	s_delay_alu instid0(VALU_DEP_3) | instskip(NEXT) | instid1(VALU_DEP_1)
	v_sub_co_ci_u32_e32 v15, vcc_lo, v11, v15, vcc_lo
	v_or_b32_e32 v11, s41, v15
	s_delay_alu instid0(VALU_DEP_1) | instskip(SKIP_1) | instid1(SALU_CYCLE_1)
	v_cmp_ne_u64_e32 vcc_lo, 0, v[10:11]
                                        ; implicit-def: $vgpr10_vgpr11
	s_and_saveexec_b32 s2, vcc_lo
	s_xor_b32 s3, exec_lo, s2
	s_cbranch_execz .LBB19_23
; %bb.22:
	s_ashr_i32 s4, s41, 31
	s_delay_alu instid0(SALU_CYCLE_1) | instskip(SKIP_2) | instid1(SALU_CYCLE_1)
	s_add_u32 s6, s40, s4
	s_mov_b32 s5, s4
	s_addc_u32 s7, s41, s4
	s_xor_b64 s[6:7], s[6:7], s[4:5]
	s_delay_alu instid0(SALU_CYCLE_1) | instskip(SKIP_3) | instid1(VALU_DEP_1)
	v_cvt_f32_u32_e32 v10, s6
	v_cvt_f32_u32_e32 v11, s7
	s_sub_u32 s2, 0, s6
	s_subb_u32 s5, 0, s7
	v_fmamk_f32 v10, v11, 0x4f800000, v10
	s_delay_alu instid0(VALU_DEP_1) | instskip(SKIP_2) | instid1(VALU_DEP_1)
	v_rcp_f32_e32 v10, v10
	s_waitcnt_depctr 0xfff
	v_mul_f32_e32 v10, 0x5f7ffffc, v10
	v_mul_f32_e32 v11, 0x2f800000, v10
	s_delay_alu instid0(VALU_DEP_1) | instskip(NEXT) | instid1(VALU_DEP_1)
	v_trunc_f32_e32 v11, v11
	v_fmamk_f32 v10, v11, 0xcf800000, v10
	v_cvt_u32_f32_e32 v11, v11
	s_delay_alu instid0(VALU_DEP_2) | instskip(NEXT) | instid1(VALU_DEP_2)
	v_cvt_u32_f32_e32 v10, v10
	v_mul_lo_u32 v16, s2, v11
	s_delay_alu instid0(VALU_DEP_2) | instskip(SKIP_1) | instid1(VALU_DEP_2)
	v_mul_hi_u32 v17, s2, v10
	v_mul_lo_u32 v18, s5, v10
	v_add_nc_u32_e32 v16, v17, v16
	v_mul_lo_u32 v17, s2, v10
	s_delay_alu instid0(VALU_DEP_2) | instskip(NEXT) | instid1(VALU_DEP_2)
	v_add_nc_u32_e32 v16, v16, v18
	v_mul_hi_u32 v18, v10, v17
	s_delay_alu instid0(VALU_DEP_2)
	v_mul_lo_u32 v19, v10, v16
	v_mul_hi_u32 v20, v10, v16
	v_mul_hi_u32 v21, v11, v17
	v_mul_lo_u32 v17, v11, v17
	v_mul_hi_u32 v22, v11, v16
	v_mul_lo_u32 v16, v11, v16
	v_add_co_u32 v18, vcc_lo, v18, v19
	v_add_co_ci_u32_e32 v19, vcc_lo, 0, v20, vcc_lo
	s_delay_alu instid0(VALU_DEP_2) | instskip(NEXT) | instid1(VALU_DEP_2)
	v_add_co_u32 v17, vcc_lo, v18, v17
	v_add_co_ci_u32_e32 v17, vcc_lo, v19, v21, vcc_lo
	v_add_co_ci_u32_e32 v18, vcc_lo, 0, v22, vcc_lo
	v_ashrrev_i32_e32 v21, 31, v15
	s_delay_alu instid0(VALU_DEP_3) | instskip(NEXT) | instid1(VALU_DEP_3)
	v_add_co_u32 v16, vcc_lo, v17, v16
	v_add_co_ci_u32_e32 v17, vcc_lo, 0, v18, vcc_lo
	s_delay_alu instid0(VALU_DEP_2) | instskip(NEXT) | instid1(VALU_DEP_2)
	v_add_co_u32 v10, vcc_lo, v10, v16
	v_add_co_ci_u32_e32 v11, vcc_lo, v11, v17, vcc_lo
	s_delay_alu instid0(VALU_DEP_2) | instskip(SKIP_1) | instid1(VALU_DEP_3)
	v_mul_hi_u32 v16, s2, v10
	v_mul_lo_u32 v18, s5, v10
	v_mul_lo_u32 v17, s2, v11
	s_delay_alu instid0(VALU_DEP_1) | instskip(SKIP_1) | instid1(VALU_DEP_2)
	v_add_nc_u32_e32 v16, v16, v17
	v_mul_lo_u32 v17, s2, v10
	v_add_nc_u32_e32 v16, v16, v18
	s_delay_alu instid0(VALU_DEP_2) | instskip(NEXT) | instid1(VALU_DEP_2)
	v_mul_hi_u32 v18, v10, v17
	v_mul_lo_u32 v19, v10, v16
	v_mul_hi_u32 v20, v10, v16
	v_mul_hi_u32 v22, v11, v17
	v_mul_lo_u32 v17, v11, v17
	v_mul_hi_u32 v23, v11, v16
	v_mul_lo_u32 v16, v11, v16
	v_add_co_u32 v18, vcc_lo, v18, v19
	v_add_co_ci_u32_e32 v19, vcc_lo, 0, v20, vcc_lo
	s_delay_alu instid0(VALU_DEP_2) | instskip(NEXT) | instid1(VALU_DEP_2)
	v_add_co_u32 v17, vcc_lo, v18, v17
	v_add_co_ci_u32_e32 v17, vcc_lo, v19, v22, vcc_lo
	v_add_co_ci_u32_e32 v18, vcc_lo, 0, v23, vcc_lo
	v_add_co_u32 v19, vcc_lo, v14, v21
	v_add_co_ci_u32_e32 v20, vcc_lo, v15, v21, vcc_lo
	s_delay_alu instid0(VALU_DEP_4) | instskip(NEXT) | instid1(VALU_DEP_4)
	v_add_co_u32 v16, vcc_lo, v17, v16
	v_add_co_ci_u32_e32 v17, vcc_lo, 0, v18, vcc_lo
	s_delay_alu instid0(VALU_DEP_4) | instskip(NEXT) | instid1(VALU_DEP_3)
	v_xor_b32_e32 v22, v19, v21
	v_add_co_u32 v18, vcc_lo, v10, v16
	s_delay_alu instid0(VALU_DEP_3) | instskip(SKIP_1) | instid1(VALU_DEP_3)
	v_add_co_ci_u32_e32 v23, vcc_lo, v11, v17, vcc_lo
	v_xor_b32_e32 v20, v20, v21
	v_mul_hi_u32 v24, v22, v18
	s_delay_alu instid0(VALU_DEP_3) | instskip(NEXT) | instid1(VALU_DEP_3)
	v_mad_u64_u32 v[10:11], null, v22, v23, 0
	v_mad_u64_u32 v[16:17], null, v20, v18, 0
	v_mad_u64_u32 v[18:19], null, v20, v23, 0
	s_delay_alu instid0(VALU_DEP_3) | instskip(NEXT) | instid1(VALU_DEP_4)
	v_add_co_u32 v10, vcc_lo, v24, v10
	v_add_co_ci_u32_e32 v11, vcc_lo, 0, v11, vcc_lo
	s_delay_alu instid0(VALU_DEP_2) | instskip(NEXT) | instid1(VALU_DEP_2)
	v_add_co_u32 v10, vcc_lo, v10, v16
	v_add_co_ci_u32_e32 v10, vcc_lo, v11, v17, vcc_lo
	v_add_co_ci_u32_e32 v11, vcc_lo, 0, v19, vcc_lo
	s_delay_alu instid0(VALU_DEP_2) | instskip(NEXT) | instid1(VALU_DEP_2)
	v_add_co_u32 v16, vcc_lo, v10, v18
	v_add_co_ci_u32_e32 v17, vcc_lo, 0, v11, vcc_lo
	s_delay_alu instid0(VALU_DEP_2) | instskip(SKIP_1) | instid1(VALU_DEP_3)
	v_mul_lo_u32 v18, s7, v16
	v_mad_u64_u32 v[10:11], null, s6, v16, 0
	v_mul_lo_u32 v19, s6, v17
	s_delay_alu instid0(VALU_DEP_2) | instskip(NEXT) | instid1(VALU_DEP_2)
	v_sub_co_u32 v10, vcc_lo, v22, v10
	v_add3_u32 v11, v11, v19, v18
	s_delay_alu instid0(VALU_DEP_1) | instskip(NEXT) | instid1(VALU_DEP_1)
	v_sub_nc_u32_e32 v18, v20, v11
	v_subrev_co_ci_u32_e64 v18, s2, s7, v18, vcc_lo
	v_add_co_u32 v19, s2, v16, 2
	s_delay_alu instid0(VALU_DEP_1) | instskip(SKIP_3) | instid1(VALU_DEP_3)
	v_add_co_ci_u32_e64 v22, s2, 0, v17, s2
	v_sub_co_u32 v23, s2, v10, s6
	v_sub_co_ci_u32_e32 v11, vcc_lo, v20, v11, vcc_lo
	v_subrev_co_ci_u32_e64 v18, s2, 0, v18, s2
	v_cmp_le_u32_e32 vcc_lo, s6, v23
	s_delay_alu instid0(VALU_DEP_3) | instskip(SKIP_1) | instid1(VALU_DEP_4)
	v_cmp_eq_u32_e64 s2, s7, v11
	v_cndmask_b32_e64 v20, 0, -1, vcc_lo
	v_cmp_le_u32_e32 vcc_lo, s7, v18
	v_cndmask_b32_e64 v23, 0, -1, vcc_lo
	v_cmp_le_u32_e32 vcc_lo, s6, v10
	;; [unrolled: 2-line block ×3, first 2 shown]
	v_cndmask_b32_e64 v24, 0, -1, vcc_lo
	v_cmp_eq_u32_e32 vcc_lo, s7, v18
	s_delay_alu instid0(VALU_DEP_2) | instskip(SKIP_3) | instid1(VALU_DEP_3)
	v_cndmask_b32_e64 v10, v24, v10, s2
	v_cndmask_b32_e32 v18, v23, v20, vcc_lo
	v_add_co_u32 v20, vcc_lo, v16, 1
	v_add_co_ci_u32_e32 v23, vcc_lo, 0, v17, vcc_lo
	v_cmp_ne_u32_e32 vcc_lo, 0, v18
	s_delay_alu instid0(VALU_DEP_2) | instskip(SKIP_2) | instid1(VALU_DEP_3)
	v_dual_cndmask_b32 v11, v23, v22 :: v_dual_cndmask_b32 v18, v20, v19
	v_cmp_ne_u32_e32 vcc_lo, 0, v10
	v_xor_b32_e32 v19, s4, v21
	v_dual_cndmask_b32 v10, v17, v11 :: v_dual_cndmask_b32 v11, v16, v18
	s_delay_alu instid0(VALU_DEP_1) | instskip(NEXT) | instid1(VALU_DEP_2)
	v_xor_b32_e32 v16, v10, v19
	v_xor_b32_e32 v11, v11, v19
	s_delay_alu instid0(VALU_DEP_1) | instskip(NEXT) | instid1(VALU_DEP_3)
	v_sub_co_u32 v10, vcc_lo, v11, v19
	v_sub_co_ci_u32_e32 v11, vcc_lo, v16, v19, vcc_lo
.LBB19_23:
	s_and_not1_saveexec_b32 s2, s3
	s_cbranch_execz .LBB19_25
; %bb.24:
	v_cvt_f32_u32_e32 v10, s40
	s_sub_i32 s3, 0, s40
	s_delay_alu instid0(VALU_DEP_1) | instskip(SKIP_2) | instid1(VALU_DEP_1)
	v_rcp_iflag_f32_e32 v10, v10
	s_waitcnt_depctr 0xfff
	v_mul_f32_e32 v10, 0x4f7ffffe, v10
	v_cvt_u32_f32_e32 v10, v10
	s_delay_alu instid0(VALU_DEP_1) | instskip(NEXT) | instid1(VALU_DEP_1)
	v_mul_lo_u32 v11, s3, v10
	v_mul_hi_u32 v11, v10, v11
	s_delay_alu instid0(VALU_DEP_1) | instskip(NEXT) | instid1(VALU_DEP_1)
	v_add_nc_u32_e32 v10, v10, v11
	v_mul_hi_u32 v10, v14, v10
	s_delay_alu instid0(VALU_DEP_1) | instskip(SKIP_1) | instid1(VALU_DEP_2)
	v_mul_lo_u32 v11, v10, s40
	v_add_nc_u32_e32 v16, 1, v10
	v_sub_nc_u32_e32 v11, v14, v11
	s_delay_alu instid0(VALU_DEP_1) | instskip(SKIP_1) | instid1(VALU_DEP_2)
	v_subrev_nc_u32_e32 v17, s40, v11
	v_cmp_le_u32_e32 vcc_lo, s40, v11
	v_dual_cndmask_b32 v11, v11, v17 :: v_dual_cndmask_b32 v10, v10, v16
	s_delay_alu instid0(VALU_DEP_1) | instskip(NEXT) | instid1(VALU_DEP_2)
	v_cmp_le_u32_e32 vcc_lo, s40, v11
	v_dual_mov_b32 v11, 0 :: v_dual_add_nc_u32 v16, 1, v10
	s_delay_alu instid0(VALU_DEP_1)
	v_cndmask_b32_e32 v10, v10, v16, vcc_lo
.LBB19_25:
	s_or_b32 exec_lo, exec_lo, s2
	v_mul_lo_u32 v18, v7, s22
	v_mul_lo_u32 v19, v6, s23
	v_mad_u64_u32 v[16:17], null, v6, s22, 0
	v_mul_lo_u32 v7, v7, s30
	v_mul_lo_u32 v3, v3, s36
	s_load_b64 s[0:1], s[0:1], 0x80
	s_delay_alu instid0(VALU_DEP_3) | instskip(NEXT) | instid1(VALU_DEP_4)
	v_add3_u32 v17, v17, v19, v18
	v_sub_co_u32 v16, vcc_lo, v12, v16
	s_delay_alu instid0(VALU_DEP_2) | instskip(NEXT) | instid1(VALU_DEP_2)
	v_sub_co_ci_u32_e32 v17, vcc_lo, v13, v17, vcc_lo
	v_mul_lo_u32 v18, v16, s29
	v_mad_u64_u32 v[12:13], null, v16, s28, s[16:17]
	s_delay_alu instid0(VALU_DEP_3) | instskip(NEXT) | instid1(VALU_DEP_1)
	v_mul_lo_u32 v16, v17, s28
	v_add3_u32 v13, v16, v13, v18
	v_mul_lo_u32 v18, v6, s31
	s_delay_alu instid0(VALU_DEP_2) | instskip(SKIP_1) | instid1(VALU_DEP_2)
	v_mad_u64_u32 v[16:17], null, v6, s30, v[12:13]
	v_mul_lo_u32 v12, v2, s37
	v_add3_u32 v17, v7, v17, v18
	s_delay_alu instid0(VALU_DEP_1) | instskip(NEXT) | instid1(VALU_DEP_1)
	v_mad_u64_u32 v[6:7], null, v2, s36, v[16:17]
	v_add3_u32 v7, v3, v7, v12
	v_mul_lo_u32 v12, v0, s39
	s_delay_alu instid0(VALU_DEP_2) | instskip(SKIP_1) | instid1(VALU_DEP_1)
	v_mad_u64_u32 v[2:3], null, v0, s38, v[6:7]
	v_mul_lo_u32 v0, v1, s38
	v_add3_u32 v3, v0, v3, v12
	v_mad_u64_u32 v[0:1], null, v10, s40, 0
	global_load_u16 v6, v[2:3], off
	v_mul_lo_u32 v2, v11, s40
	v_mul_lo_u32 v3, v10, s41
	s_delay_alu instid0(VALU_DEP_1) | instskip(SKIP_1) | instid1(VALU_DEP_2)
	v_add3_u32 v1, v1, v3, v2
	v_sub_co_u32 v2, vcc_lo, v14, v0
	v_sub_co_ci_u32_e32 v0, vcc_lo, v15, v1, vcc_lo
	s_delay_alu instid0(VALU_DEP_2) | instskip(NEXT) | instid1(VALU_DEP_2)
	v_mul_lo_u32 v3, v2, s47
	v_mul_lo_u32 v7, v0, s46
	v_mad_u64_u32 v[0:1], null, v2, s46, s[18:19]
	s_delay_alu instid0(VALU_DEP_1) | instskip(NEXT) | instid1(VALU_DEP_1)
	v_add3_u32 v1, v7, v1, v3
	v_mad_u64_u32 v[2:3], null, v10, s48, v[0:1]
	v_mul_lo_u32 v0, v10, s49
	v_mul_lo_u32 v1, v11, s48
	s_delay_alu instid0(VALU_DEP_1) | instskip(NEXT) | instid1(VALU_DEP_1)
	v_add3_u32 v3, v1, v3, v0
	v_mad_u64_u32 v[0:1], null, v4, s50, v[2:3]
	v_mul_lo_u32 v2, v4, s51
	v_mul_lo_u32 v3, v5, s50
	s_delay_alu instid0(VALU_DEP_1) | instskip(SKIP_1) | instid1(VALU_DEP_1)
	v_add3_u32 v1, v3, v1, v2
	s_waitcnt lgkmcnt(0)
	v_mad_u64_u32 v[2:3], null, v8, s0, v[0:1]
	v_mul_lo_u32 v0, v8, s1
	v_mul_lo_u32 v1, v9, s0
	s_delay_alu instid0(VALU_DEP_1)
	v_add3_u32 v3, v1, v3, v0
	s_waitcnt vmcnt(0)
	global_store_b16 v[2:3], v6, off
.LBB19_26:
	s_nop 0
	s_sendmsg sendmsg(MSG_DEALLOC_VGPRS)
	s_endpgm
	.section	.rodata,"a",@progbits
	.p2align	6, 0x0
	.amdhsa_kernel _ZL10cpy_scalarIXadL_ZL12cpy_1_scalarI6__halfS1_EvPKcPcEEEvS3_S4_lllllllllllllll
		.amdhsa_group_segment_fixed_size 0
		.amdhsa_private_segment_fixed_size 0
		.amdhsa_kernarg_size 392
		.amdhsa_user_sgpr_count 15
		.amdhsa_user_sgpr_dispatch_ptr 0
		.amdhsa_user_sgpr_queue_ptr 0
		.amdhsa_user_sgpr_kernarg_segment_ptr 1
		.amdhsa_user_sgpr_dispatch_id 0
		.amdhsa_user_sgpr_private_segment_size 0
		.amdhsa_wavefront_size32 1
		.amdhsa_uses_dynamic_stack 0
		.amdhsa_enable_private_segment 0
		.amdhsa_system_sgpr_workgroup_id_x 1
		.amdhsa_system_sgpr_workgroup_id_y 0
		.amdhsa_system_sgpr_workgroup_id_z 0
		.amdhsa_system_sgpr_workgroup_info 0
		.amdhsa_system_vgpr_workitem_id 0
		.amdhsa_next_free_vgpr 25
		.amdhsa_next_free_sgpr 52
		.amdhsa_reserve_vcc 1
		.amdhsa_float_round_mode_32 0
		.amdhsa_float_round_mode_16_64 0
		.amdhsa_float_denorm_mode_32 3
		.amdhsa_float_denorm_mode_16_64 3
		.amdhsa_dx10_clamp 1
		.amdhsa_ieee_mode 1
		.amdhsa_fp16_overflow 0
		.amdhsa_workgroup_processor_mode 1
		.amdhsa_memory_ordered 1
		.amdhsa_forward_progress 0
		.amdhsa_shared_vgpr_count 0
		.amdhsa_exception_fp_ieee_invalid_op 0
		.amdhsa_exception_fp_denorm_src 0
		.amdhsa_exception_fp_ieee_div_zero 0
		.amdhsa_exception_fp_ieee_overflow 0
		.amdhsa_exception_fp_ieee_underflow 0
		.amdhsa_exception_fp_ieee_inexact 0
		.amdhsa_exception_int_div_zero 0
	.end_amdhsa_kernel
	.section	.text._ZL10cpy_scalarIXadL_ZL12cpy_1_scalarI6__halfS1_EvPKcPcEEEvS3_S4_lllllllllllllll,"axG",@progbits,_ZL10cpy_scalarIXadL_ZL12cpy_1_scalarI6__halfS1_EvPKcPcEEEvS3_S4_lllllllllllllll,comdat
.Lfunc_end19:
	.size	_ZL10cpy_scalarIXadL_ZL12cpy_1_scalarI6__halfS1_EvPKcPcEEEvS3_S4_lllllllllllllll, .Lfunc_end19-_ZL10cpy_scalarIXadL_ZL12cpy_1_scalarI6__halfS1_EvPKcPcEEEvS3_S4_lllllllllllllll
                                        ; -- End function
	.section	.AMDGPU.csdata,"",@progbits
; Kernel info:
; codeLenInByte = 6828
; NumSgprs: 54
; NumVgprs: 25
; ScratchSize: 0
; MemoryBound: 0
; FloatMode: 240
; IeeeMode: 1
; LDSByteSize: 0 bytes/workgroup (compile time only)
; SGPRBlocks: 6
; VGPRBlocks: 3
; NumSGPRsForWavesPerEU: 54
; NumVGPRsForWavesPerEU: 25
; Occupancy: 16
; WaveLimiterHint : 0
; COMPUTE_PGM_RSRC2:SCRATCH_EN: 0
; COMPUTE_PGM_RSRC2:USER_SGPR: 15
; COMPUTE_PGM_RSRC2:TRAP_HANDLER: 0
; COMPUTE_PGM_RSRC2:TGID_X_EN: 1
; COMPUTE_PGM_RSRC2:TGID_Y_EN: 0
; COMPUTE_PGM_RSRC2:TGID_Z_EN: 0
; COMPUTE_PGM_RSRC2:TIDIG_COMP_CNT: 0
	.section	.text._ZL21cpy_scalar_contiguousI6__half14__hip_bfloat16EvPKcPcl,"axG",@progbits,_ZL21cpy_scalar_contiguousI6__half14__hip_bfloat16EvPKcPcl,comdat
	.globl	_ZL21cpy_scalar_contiguousI6__half14__hip_bfloat16EvPKcPcl ; -- Begin function _ZL21cpy_scalar_contiguousI6__half14__hip_bfloat16EvPKcPcl
	.p2align	8
	.type	_ZL21cpy_scalar_contiguousI6__half14__hip_bfloat16EvPKcPcl,@function
_ZL21cpy_scalar_contiguousI6__half14__hip_bfloat16EvPKcPcl: ; @_ZL21cpy_scalar_contiguousI6__half14__hip_bfloat16EvPKcPcl
; %bb.0:
	s_clause 0x1
	s_load_b32 s4, s[0:1], 0x24
	s_load_b64 s[2:3], s[0:1], 0x10
	v_mov_b32_e32 v1, 0
	s_waitcnt lgkmcnt(0)
	s_and_b32 s4, s4, 0xffff
	s_delay_alu instid0(VALU_DEP_1) | instid1(SALU_CYCLE_1)
	v_mad_u64_u32 v[2:3], null, s4, s15, v[0:1]
	s_delay_alu instid0(VALU_DEP_1)
	v_cmp_gt_i64_e32 vcc_lo, s[2:3], v[2:3]
	s_and_saveexec_b32 s2, vcc_lo
	s_cbranch_execz .LBB20_6
; %bb.1:
	s_load_b128 s[0:3], s[0:1], 0x0
	v_lshlrev_b64 v[0:1], 1, v[2:3]
	s_waitcnt lgkmcnt(0)
	s_delay_alu instid0(VALU_DEP_1) | instskip(NEXT) | instid1(VALU_DEP_2)
	v_add_co_u32 v2, vcc_lo, s0, v0
	v_add_co_ci_u32_e32 v3, vcc_lo, s1, v1, vcc_lo
	global_load_u16 v2, v[2:3], off
	s_waitcnt vmcnt(0)
	v_cvt_f32_f16_e32 v3, v2
	s_delay_alu instid0(VALU_DEP_1) | instskip(NEXT) | instid1(VALU_DEP_1)
	v_and_b32_e32 v2, 0x7f800000, v3
	v_cmp_ne_u32_e32 vcc_lo, 0x7f800000, v2
                                        ; implicit-def: $vgpr2
	s_and_saveexec_b32 s0, vcc_lo
	s_delay_alu instid0(SALU_CYCLE_1)
	s_xor_b32 s0, exec_lo, s0
; %bb.2:
	v_bfe_u32 v2, v3, 16, 1
	s_delay_alu instid0(VALU_DEP_1)
	v_add3_u32 v2, v3, v2, 0x7fff
                                        ; implicit-def: $vgpr3
; %bb.3:
	s_and_not1_saveexec_b32 s0, s0
; %bb.4:
	v_and_b32_e32 v2, 0xffff, v3
	v_or_b32_e32 v4, 0x10000, v3
	s_delay_alu instid0(VALU_DEP_2) | instskip(NEXT) | instid1(VALU_DEP_2)
	v_cmp_eq_u32_e32 vcc_lo, 0, v2
	v_cndmask_b32_e32 v2, v4, v3, vcc_lo
; %bb.5:
	s_or_b32 exec_lo, exec_lo, s0
	v_add_co_u32 v0, vcc_lo, s2, v0
	v_add_co_ci_u32_e32 v1, vcc_lo, s3, v1, vcc_lo
	global_store_d16_hi_b16 v[0:1], v2, off
.LBB20_6:
	s_nop 0
	s_sendmsg sendmsg(MSG_DEALLOC_VGPRS)
	s_endpgm
	.section	.rodata,"a",@progbits
	.p2align	6, 0x0
	.amdhsa_kernel _ZL21cpy_scalar_contiguousI6__half14__hip_bfloat16EvPKcPcl
		.amdhsa_group_segment_fixed_size 0
		.amdhsa_private_segment_fixed_size 0
		.amdhsa_kernarg_size 280
		.amdhsa_user_sgpr_count 15
		.amdhsa_user_sgpr_dispatch_ptr 0
		.amdhsa_user_sgpr_queue_ptr 0
		.amdhsa_user_sgpr_kernarg_segment_ptr 1
		.amdhsa_user_sgpr_dispatch_id 0
		.amdhsa_user_sgpr_private_segment_size 0
		.amdhsa_wavefront_size32 1
		.amdhsa_uses_dynamic_stack 0
		.amdhsa_enable_private_segment 0
		.amdhsa_system_sgpr_workgroup_id_x 1
		.amdhsa_system_sgpr_workgroup_id_y 0
		.amdhsa_system_sgpr_workgroup_id_z 0
		.amdhsa_system_sgpr_workgroup_info 0
		.amdhsa_system_vgpr_workitem_id 0
		.amdhsa_next_free_vgpr 5
		.amdhsa_next_free_sgpr 16
		.amdhsa_reserve_vcc 1
		.amdhsa_float_round_mode_32 0
		.amdhsa_float_round_mode_16_64 0
		.amdhsa_float_denorm_mode_32 3
		.amdhsa_float_denorm_mode_16_64 3
		.amdhsa_dx10_clamp 1
		.amdhsa_ieee_mode 1
		.amdhsa_fp16_overflow 0
		.amdhsa_workgroup_processor_mode 1
		.amdhsa_memory_ordered 1
		.amdhsa_forward_progress 0
		.amdhsa_shared_vgpr_count 0
		.amdhsa_exception_fp_ieee_invalid_op 0
		.amdhsa_exception_fp_denorm_src 0
		.amdhsa_exception_fp_ieee_div_zero 0
		.amdhsa_exception_fp_ieee_overflow 0
		.amdhsa_exception_fp_ieee_underflow 0
		.amdhsa_exception_fp_ieee_inexact 0
		.amdhsa_exception_int_div_zero 0
	.end_amdhsa_kernel
	.section	.text._ZL21cpy_scalar_contiguousI6__half14__hip_bfloat16EvPKcPcl,"axG",@progbits,_ZL21cpy_scalar_contiguousI6__half14__hip_bfloat16EvPKcPcl,comdat
.Lfunc_end20:
	.size	_ZL21cpy_scalar_contiguousI6__half14__hip_bfloat16EvPKcPcl, .Lfunc_end20-_ZL21cpy_scalar_contiguousI6__half14__hip_bfloat16EvPKcPcl
                                        ; -- End function
	.section	.AMDGPU.csdata,"",@progbits
; Kernel info:
; codeLenInByte = 240
; NumSgprs: 18
; NumVgprs: 5
; ScratchSize: 0
; MemoryBound: 0
; FloatMode: 240
; IeeeMode: 1
; LDSByteSize: 0 bytes/workgroup (compile time only)
; SGPRBlocks: 2
; VGPRBlocks: 0
; NumSGPRsForWavesPerEU: 18
; NumVGPRsForWavesPerEU: 5
; Occupancy: 16
; WaveLimiterHint : 0
; COMPUTE_PGM_RSRC2:SCRATCH_EN: 0
; COMPUTE_PGM_RSRC2:USER_SGPR: 15
; COMPUTE_PGM_RSRC2:TRAP_HANDLER: 0
; COMPUTE_PGM_RSRC2:TGID_X_EN: 1
; COMPUTE_PGM_RSRC2:TGID_Y_EN: 0
; COMPUTE_PGM_RSRC2:TGID_Z_EN: 0
; COMPUTE_PGM_RSRC2:TIDIG_COMP_CNT: 0
	.section	.text._ZL10cpy_scalarIXadL_ZL12cpy_1_scalarI6__half14__hip_bfloat16EvPKcPcEEEvS4_S5_lllllllllllllll,"axG",@progbits,_ZL10cpy_scalarIXadL_ZL12cpy_1_scalarI6__half14__hip_bfloat16EvPKcPcEEEvS4_S5_lllllllllllllll,comdat
	.globl	_ZL10cpy_scalarIXadL_ZL12cpy_1_scalarI6__half14__hip_bfloat16EvPKcPcEEEvS4_S5_lllllllllllllll ; -- Begin function _ZL10cpy_scalarIXadL_ZL12cpy_1_scalarI6__half14__hip_bfloat16EvPKcPcEEEvS4_S5_lllllllllllllll
	.p2align	8
	.type	_ZL10cpy_scalarIXadL_ZL12cpy_1_scalarI6__half14__hip_bfloat16EvPKcPcEEEvS4_S5_lllllllllllllll,@function
_ZL10cpy_scalarIXadL_ZL12cpy_1_scalarI6__half14__hip_bfloat16EvPKcPcEEEvS4_S5_lllllllllllllll: ; @_ZL10cpy_scalarIXadL_ZL12cpy_1_scalarI6__half14__hip_bfloat16EvPKcPcEEEvS4_S5_lllllllllllllll
; %bb.0:
	s_clause 0x1
	s_load_b32 s2, s[0:1], 0x94
	s_load_b512 s[16:31], s[0:1], 0x0
	v_mov_b32_e32 v2, 0
	s_delay_alu instid0(VALU_DEP_1)
	v_mov_b32_e32 v1, v2
	s_waitcnt lgkmcnt(0)
	s_and_b32 s2, s2, 0xffff
	s_delay_alu instid0(VALU_DEP_1) | instid1(SALU_CYCLE_1)
	v_mad_u64_u32 v[4:5], null, s2, s15, v[0:1]
	s_mov_b32 s2, exec_lo
	s_delay_alu instid0(VALU_DEP_1)
	v_cmpx_gt_i64_e64 s[20:21], v[4:5]
	s_cbranch_execz .LBB21_30
; %bb.1:
	s_mul_i32 s2, s24, s23
	s_mul_hi_u32 s3, s24, s22
	v_ashrrev_i32_e32 v10, 31, v5
	s_add_i32 s8, s3, s2
	s_mul_i32 s3, s24, s22
	s_mul_i32 s2, s25, s22
	;; [unrolled: 1-line block ×3, first 2 shown]
	s_mul_hi_u32 s5, s3, s26
	s_add_i32 s8, s8, s2
	s_add_i32 s2, s5, s4
	s_mul_i32 s4, s8, s26
	s_mul_i32 s10, s3, s26
	s_add_i32 s9, s2, s4
                                        ; implicit-def: $vgpr0_vgpr1
	s_mov_b32 s2, exec_lo
	v_or_b32_e32 v3, s9, v5
	s_delay_alu instid0(VALU_DEP_1)
	v_cmpx_ne_u64_e32 0, v[2:3]
	s_xor_b32 s11, exec_lo, s2
	s_cbranch_execz .LBB21_3
; %bb.2:
	s_ashr_i32 s4, s9, 31
	s_delay_alu instid0(SALU_CYCLE_1) | instskip(SKIP_2) | instid1(SALU_CYCLE_1)
	s_add_u32 s6, s10, s4
	s_mov_b32 s5, s4
	s_addc_u32 s7, s9, s4
	s_xor_b64 s[6:7], s[6:7], s[4:5]
	s_delay_alu instid0(SALU_CYCLE_1) | instskip(SKIP_3) | instid1(VALU_DEP_1)
	v_cvt_f32_u32_e32 v0, s6
	v_cvt_f32_u32_e32 v1, s7
	s_sub_u32 s2, 0, s6
	s_subb_u32 s5, 0, s7
	v_fmamk_f32 v0, v1, 0x4f800000, v0
	s_delay_alu instid0(VALU_DEP_1) | instskip(SKIP_2) | instid1(VALU_DEP_1)
	v_rcp_f32_e32 v0, v0
	s_waitcnt_depctr 0xfff
	v_mul_f32_e32 v0, 0x5f7ffffc, v0
	v_mul_f32_e32 v1, 0x2f800000, v0
	s_delay_alu instid0(VALU_DEP_1) | instskip(NEXT) | instid1(VALU_DEP_1)
	v_trunc_f32_e32 v1, v1
	v_fmamk_f32 v0, v1, 0xcf800000, v0
	v_cvt_u32_f32_e32 v1, v1
	s_delay_alu instid0(VALU_DEP_2) | instskip(NEXT) | instid1(VALU_DEP_2)
	v_cvt_u32_f32_e32 v0, v0
	v_mul_lo_u32 v2, s2, v1
	s_delay_alu instid0(VALU_DEP_2) | instskip(SKIP_1) | instid1(VALU_DEP_2)
	v_mul_hi_u32 v3, s2, v0
	v_mul_lo_u32 v6, s5, v0
	v_add_nc_u32_e32 v2, v3, v2
	v_mul_lo_u32 v3, s2, v0
	s_delay_alu instid0(VALU_DEP_2) | instskip(NEXT) | instid1(VALU_DEP_2)
	v_add_nc_u32_e32 v2, v2, v6
	v_mul_hi_u32 v6, v0, v3
	s_delay_alu instid0(VALU_DEP_2)
	v_mul_lo_u32 v7, v0, v2
	v_mul_hi_u32 v8, v0, v2
	v_mul_hi_u32 v9, v1, v3
	v_mul_lo_u32 v3, v1, v3
	v_mul_hi_u32 v11, v1, v2
	v_mul_lo_u32 v2, v1, v2
	v_add_co_u32 v6, vcc_lo, v6, v7
	v_add_co_ci_u32_e32 v7, vcc_lo, 0, v8, vcc_lo
	s_delay_alu instid0(VALU_DEP_2) | instskip(NEXT) | instid1(VALU_DEP_2)
	v_add_co_u32 v3, vcc_lo, v6, v3
	v_add_co_ci_u32_e32 v3, vcc_lo, v7, v9, vcc_lo
	v_add_co_ci_u32_e32 v6, vcc_lo, 0, v11, vcc_lo
	s_delay_alu instid0(VALU_DEP_2) | instskip(NEXT) | instid1(VALU_DEP_2)
	v_add_co_u32 v2, vcc_lo, v3, v2
	v_add_co_ci_u32_e32 v3, vcc_lo, 0, v6, vcc_lo
	s_delay_alu instid0(VALU_DEP_2) | instskip(NEXT) | instid1(VALU_DEP_2)
	v_add_co_u32 v0, vcc_lo, v0, v2
	v_add_co_ci_u32_e32 v1, vcc_lo, v1, v3, vcc_lo
	s_delay_alu instid0(VALU_DEP_2) | instskip(SKIP_1) | instid1(VALU_DEP_3)
	v_mul_hi_u32 v2, s2, v0
	v_mul_lo_u32 v6, s5, v0
	v_mul_lo_u32 v3, s2, v1
	s_delay_alu instid0(VALU_DEP_1) | instskip(SKIP_1) | instid1(VALU_DEP_2)
	v_add_nc_u32_e32 v2, v2, v3
	v_mul_lo_u32 v3, s2, v0
	v_add_nc_u32_e32 v2, v2, v6
	s_delay_alu instid0(VALU_DEP_2) | instskip(NEXT) | instid1(VALU_DEP_2)
	v_mul_hi_u32 v6, v0, v3
	v_mul_lo_u32 v7, v0, v2
	v_mul_hi_u32 v8, v0, v2
	v_mul_hi_u32 v9, v1, v3
	v_mul_lo_u32 v3, v1, v3
	v_mul_hi_u32 v11, v1, v2
	v_mul_lo_u32 v2, v1, v2
	v_add_co_u32 v6, vcc_lo, v6, v7
	v_add_co_ci_u32_e32 v7, vcc_lo, 0, v8, vcc_lo
	s_delay_alu instid0(VALU_DEP_2) | instskip(NEXT) | instid1(VALU_DEP_2)
	v_add_co_u32 v3, vcc_lo, v6, v3
	v_add_co_ci_u32_e32 v3, vcc_lo, v7, v9, vcc_lo
	v_add_co_ci_u32_e32 v6, vcc_lo, 0, v11, vcc_lo
	v_add_co_u32 v7, vcc_lo, v4, v10
	v_add_co_ci_u32_e32 v8, vcc_lo, v5, v10, vcc_lo
	s_delay_alu instid0(VALU_DEP_4) | instskip(NEXT) | instid1(VALU_DEP_4)
	v_add_co_u32 v2, vcc_lo, v3, v2
	v_add_co_ci_u32_e32 v3, vcc_lo, 0, v6, vcc_lo
	s_delay_alu instid0(VALU_DEP_4) | instskip(NEXT) | instid1(VALU_DEP_3)
	v_xor_b32_e32 v9, v7, v10
	v_add_co_u32 v6, vcc_lo, v0, v2
	s_delay_alu instid0(VALU_DEP_3) | instskip(SKIP_1) | instid1(VALU_DEP_3)
	v_add_co_ci_u32_e32 v11, vcc_lo, v1, v3, vcc_lo
	v_xor_b32_e32 v8, v8, v10
	v_mul_hi_u32 v12, v9, v6
	s_delay_alu instid0(VALU_DEP_3) | instskip(NEXT) | instid1(VALU_DEP_3)
	v_mad_u64_u32 v[0:1], null, v9, v11, 0
	v_mad_u64_u32 v[2:3], null, v8, v6, 0
	;; [unrolled: 1-line block ×3, first 2 shown]
	s_delay_alu instid0(VALU_DEP_3) | instskip(NEXT) | instid1(VALU_DEP_4)
	v_add_co_u32 v0, vcc_lo, v12, v0
	v_add_co_ci_u32_e32 v1, vcc_lo, 0, v1, vcc_lo
	s_delay_alu instid0(VALU_DEP_2) | instskip(NEXT) | instid1(VALU_DEP_2)
	v_add_co_u32 v0, vcc_lo, v0, v2
	v_add_co_ci_u32_e32 v0, vcc_lo, v1, v3, vcc_lo
	v_add_co_ci_u32_e32 v1, vcc_lo, 0, v7, vcc_lo
	s_delay_alu instid0(VALU_DEP_2) | instskip(NEXT) | instid1(VALU_DEP_2)
	v_add_co_u32 v2, vcc_lo, v0, v6
	v_add_co_ci_u32_e32 v3, vcc_lo, 0, v1, vcc_lo
	s_delay_alu instid0(VALU_DEP_2) | instskip(SKIP_1) | instid1(VALU_DEP_3)
	v_mul_lo_u32 v6, s7, v2
	v_mad_u64_u32 v[0:1], null, s6, v2, 0
	v_mul_lo_u32 v7, s6, v3
	s_delay_alu instid0(VALU_DEP_2) | instskip(NEXT) | instid1(VALU_DEP_2)
	v_sub_co_u32 v0, vcc_lo, v9, v0
	v_add3_u32 v1, v1, v7, v6
	s_delay_alu instid0(VALU_DEP_1) | instskip(NEXT) | instid1(VALU_DEP_1)
	v_sub_nc_u32_e32 v6, v8, v1
	v_subrev_co_ci_u32_e64 v6, s2, s7, v6, vcc_lo
	v_add_co_u32 v7, s2, v2, 2
	s_delay_alu instid0(VALU_DEP_1) | instskip(SKIP_3) | instid1(VALU_DEP_3)
	v_add_co_ci_u32_e64 v9, s2, 0, v3, s2
	v_sub_co_u32 v11, s2, v0, s6
	v_sub_co_ci_u32_e32 v1, vcc_lo, v8, v1, vcc_lo
	v_subrev_co_ci_u32_e64 v6, s2, 0, v6, s2
	v_cmp_le_u32_e32 vcc_lo, s6, v11
	s_delay_alu instid0(VALU_DEP_3) | instskip(SKIP_1) | instid1(VALU_DEP_4)
	v_cmp_eq_u32_e64 s2, s7, v1
	v_cndmask_b32_e64 v8, 0, -1, vcc_lo
	v_cmp_le_u32_e32 vcc_lo, s7, v6
	v_cndmask_b32_e64 v11, 0, -1, vcc_lo
	v_cmp_le_u32_e32 vcc_lo, s6, v0
	;; [unrolled: 2-line block ×3, first 2 shown]
	v_cndmask_b32_e64 v12, 0, -1, vcc_lo
	v_cmp_eq_u32_e32 vcc_lo, s7, v6
	s_delay_alu instid0(VALU_DEP_2) | instskip(SKIP_3) | instid1(VALU_DEP_3)
	v_cndmask_b32_e64 v0, v12, v0, s2
	v_cndmask_b32_e32 v6, v11, v8, vcc_lo
	v_add_co_u32 v8, vcc_lo, v2, 1
	v_add_co_ci_u32_e32 v11, vcc_lo, 0, v3, vcc_lo
	v_cmp_ne_u32_e32 vcc_lo, 0, v6
	s_delay_alu instid0(VALU_DEP_2) | instskip(SKIP_2) | instid1(VALU_DEP_3)
	v_dual_cndmask_b32 v1, v11, v9 :: v_dual_cndmask_b32 v6, v8, v7
	v_cmp_ne_u32_e32 vcc_lo, 0, v0
	v_xor_b32_e32 v7, s4, v10
	v_dual_cndmask_b32 v0, v3, v1 :: v_dual_cndmask_b32 v1, v2, v6
	s_delay_alu instid0(VALU_DEP_1) | instskip(NEXT) | instid1(VALU_DEP_2)
	v_xor_b32_e32 v2, v0, v7
	v_xor_b32_e32 v1, v1, v7
	s_delay_alu instid0(VALU_DEP_1) | instskip(NEXT) | instid1(VALU_DEP_3)
	v_sub_co_u32 v0, vcc_lo, v1, v7
	v_sub_co_ci_u32_e32 v1, vcc_lo, v2, v7, vcc_lo
.LBB21_3:
	s_and_not1_saveexec_b32 s2, s11
	s_cbranch_execz .LBB21_5
; %bb.4:
	v_cvt_f32_u32_e32 v0, s10
	s_sub_i32 s4, 0, s10
	s_delay_alu instid0(VALU_DEP_1) | instskip(SKIP_2) | instid1(VALU_DEP_1)
	v_rcp_iflag_f32_e32 v0, v0
	s_waitcnt_depctr 0xfff
	v_mul_f32_e32 v0, 0x4f7ffffe, v0
	v_cvt_u32_f32_e32 v0, v0
	s_delay_alu instid0(VALU_DEP_1) | instskip(NEXT) | instid1(VALU_DEP_1)
	v_mul_lo_u32 v1, s4, v0
	v_mul_hi_u32 v1, v0, v1
	s_delay_alu instid0(VALU_DEP_1) | instskip(NEXT) | instid1(VALU_DEP_1)
	v_add_nc_u32_e32 v0, v0, v1
	v_mul_hi_u32 v0, v4, v0
	s_delay_alu instid0(VALU_DEP_1) | instskip(SKIP_1) | instid1(VALU_DEP_2)
	v_mul_lo_u32 v1, v0, s10
	v_add_nc_u32_e32 v2, 1, v0
	v_sub_nc_u32_e32 v1, v4, v1
	s_delay_alu instid0(VALU_DEP_1) | instskip(SKIP_1) | instid1(VALU_DEP_2)
	v_subrev_nc_u32_e32 v3, s10, v1
	v_cmp_le_u32_e32 vcc_lo, s10, v1
	v_dual_cndmask_b32 v1, v1, v3 :: v_dual_cndmask_b32 v0, v0, v2
	s_delay_alu instid0(VALU_DEP_1) | instskip(NEXT) | instid1(VALU_DEP_2)
	v_cmp_le_u32_e32 vcc_lo, s10, v1
	v_dual_mov_b32 v1, 0 :: v_dual_add_nc_u32 v2, 1, v0
	s_delay_alu instid0(VALU_DEP_1)
	v_cndmask_b32_e32 v0, v0, v2, vcc_lo
.LBB21_5:
	s_or_b32 exec_lo, exec_lo, s2
	s_delay_alu instid0(VALU_DEP_1) | instskip(NEXT) | instid1(VALU_DEP_2)
	v_mul_lo_u32 v6, s9, v0
	v_mul_lo_u32 v7, s10, v1
	v_mad_u64_u32 v[2:3], null, s10, v0, 0
	s_delay_alu instid0(VALU_DEP_1) | instskip(NEXT) | instid1(VALU_DEP_2)
	v_add3_u32 v3, v3, v7, v6
	v_sub_co_u32 v6, vcc_lo, v4, v2
	v_mov_b32_e32 v2, 0
	s_delay_alu instid0(VALU_DEP_3) | instskip(NEXT) | instid1(VALU_DEP_1)
	v_sub_co_ci_u32_e32 v7, vcc_lo, v5, v3, vcc_lo
	v_or_b32_e32 v3, s8, v7
	s_delay_alu instid0(VALU_DEP_1) | instskip(SKIP_1) | instid1(SALU_CYCLE_1)
	v_cmp_ne_u64_e32 vcc_lo, 0, v[2:3]
                                        ; implicit-def: $vgpr2_vgpr3
	s_and_saveexec_b32 s2, vcc_lo
	s_xor_b32 s9, exec_lo, s2
	s_cbranch_execz .LBB21_7
; %bb.6:
	s_ashr_i32 s4, s8, 31
	s_delay_alu instid0(SALU_CYCLE_1) | instskip(SKIP_2) | instid1(SALU_CYCLE_1)
	s_add_u32 s6, s3, s4
	s_mov_b32 s5, s4
	s_addc_u32 s7, s8, s4
	s_xor_b64 s[6:7], s[6:7], s[4:5]
	s_delay_alu instid0(SALU_CYCLE_1) | instskip(SKIP_3) | instid1(VALU_DEP_1)
	v_cvt_f32_u32_e32 v2, s6
	v_cvt_f32_u32_e32 v3, s7
	s_sub_u32 s2, 0, s6
	s_subb_u32 s5, 0, s7
	v_fmamk_f32 v2, v3, 0x4f800000, v2
	s_delay_alu instid0(VALU_DEP_1) | instskip(SKIP_2) | instid1(VALU_DEP_1)
	v_rcp_f32_e32 v2, v2
	s_waitcnt_depctr 0xfff
	v_mul_f32_e32 v2, 0x5f7ffffc, v2
	v_mul_f32_e32 v3, 0x2f800000, v2
	s_delay_alu instid0(VALU_DEP_1) | instskip(NEXT) | instid1(VALU_DEP_1)
	v_trunc_f32_e32 v3, v3
	v_fmamk_f32 v2, v3, 0xcf800000, v2
	v_cvt_u32_f32_e32 v3, v3
	s_delay_alu instid0(VALU_DEP_2) | instskip(NEXT) | instid1(VALU_DEP_2)
	v_cvt_u32_f32_e32 v2, v2
	v_mul_lo_u32 v8, s2, v3
	s_delay_alu instid0(VALU_DEP_2) | instskip(SKIP_1) | instid1(VALU_DEP_2)
	v_mul_hi_u32 v9, s2, v2
	v_mul_lo_u32 v11, s5, v2
	v_add_nc_u32_e32 v8, v9, v8
	v_mul_lo_u32 v9, s2, v2
	s_delay_alu instid0(VALU_DEP_2) | instskip(NEXT) | instid1(VALU_DEP_2)
	v_add_nc_u32_e32 v8, v8, v11
	v_mul_hi_u32 v11, v2, v9
	s_delay_alu instid0(VALU_DEP_2)
	v_mul_lo_u32 v12, v2, v8
	v_mul_hi_u32 v13, v2, v8
	v_mul_hi_u32 v14, v3, v9
	v_mul_lo_u32 v9, v3, v9
	v_mul_hi_u32 v15, v3, v8
	v_mul_lo_u32 v8, v3, v8
	v_add_co_u32 v11, vcc_lo, v11, v12
	v_add_co_ci_u32_e32 v12, vcc_lo, 0, v13, vcc_lo
	s_delay_alu instid0(VALU_DEP_2) | instskip(NEXT) | instid1(VALU_DEP_2)
	v_add_co_u32 v9, vcc_lo, v11, v9
	v_add_co_ci_u32_e32 v9, vcc_lo, v12, v14, vcc_lo
	v_add_co_ci_u32_e32 v11, vcc_lo, 0, v15, vcc_lo
	v_ashrrev_i32_e32 v14, 31, v7
	s_delay_alu instid0(VALU_DEP_3) | instskip(NEXT) | instid1(VALU_DEP_3)
	v_add_co_u32 v8, vcc_lo, v9, v8
	v_add_co_ci_u32_e32 v9, vcc_lo, 0, v11, vcc_lo
	s_delay_alu instid0(VALU_DEP_2) | instskip(NEXT) | instid1(VALU_DEP_2)
	v_add_co_u32 v2, vcc_lo, v2, v8
	v_add_co_ci_u32_e32 v3, vcc_lo, v3, v9, vcc_lo
	s_delay_alu instid0(VALU_DEP_2) | instskip(SKIP_1) | instid1(VALU_DEP_3)
	v_mul_hi_u32 v8, s2, v2
	v_mul_lo_u32 v11, s5, v2
	v_mul_lo_u32 v9, s2, v3
	s_delay_alu instid0(VALU_DEP_1) | instskip(SKIP_1) | instid1(VALU_DEP_2)
	v_add_nc_u32_e32 v8, v8, v9
	v_mul_lo_u32 v9, s2, v2
	v_add_nc_u32_e32 v8, v8, v11
	s_delay_alu instid0(VALU_DEP_2) | instskip(NEXT) | instid1(VALU_DEP_2)
	v_mul_hi_u32 v11, v2, v9
	v_mul_lo_u32 v12, v2, v8
	v_mul_hi_u32 v13, v2, v8
	v_mul_hi_u32 v15, v3, v9
	v_mul_lo_u32 v9, v3, v9
	v_mul_hi_u32 v16, v3, v8
	v_mul_lo_u32 v8, v3, v8
	v_add_co_u32 v11, vcc_lo, v11, v12
	v_add_co_ci_u32_e32 v12, vcc_lo, 0, v13, vcc_lo
	s_delay_alu instid0(VALU_DEP_2) | instskip(NEXT) | instid1(VALU_DEP_2)
	v_add_co_u32 v9, vcc_lo, v11, v9
	v_add_co_ci_u32_e32 v9, vcc_lo, v12, v15, vcc_lo
	v_add_co_ci_u32_e32 v11, vcc_lo, 0, v16, vcc_lo
	v_add_co_u32 v12, vcc_lo, v6, v14
	v_add_co_ci_u32_e32 v13, vcc_lo, v7, v14, vcc_lo
	s_delay_alu instid0(VALU_DEP_4) | instskip(NEXT) | instid1(VALU_DEP_4)
	v_add_co_u32 v8, vcc_lo, v9, v8
	v_add_co_ci_u32_e32 v9, vcc_lo, 0, v11, vcc_lo
	s_delay_alu instid0(VALU_DEP_4) | instskip(NEXT) | instid1(VALU_DEP_3)
	v_xor_b32_e32 v15, v12, v14
	v_add_co_u32 v11, vcc_lo, v2, v8
	s_delay_alu instid0(VALU_DEP_3) | instskip(SKIP_1) | instid1(VALU_DEP_3)
	v_add_co_ci_u32_e32 v16, vcc_lo, v3, v9, vcc_lo
	v_xor_b32_e32 v13, v13, v14
	v_mul_hi_u32 v17, v15, v11
	s_delay_alu instid0(VALU_DEP_3) | instskip(NEXT) | instid1(VALU_DEP_3)
	v_mad_u64_u32 v[2:3], null, v15, v16, 0
	v_mad_u64_u32 v[8:9], null, v13, v11, 0
	;; [unrolled: 1-line block ×3, first 2 shown]
	s_delay_alu instid0(VALU_DEP_3) | instskip(NEXT) | instid1(VALU_DEP_4)
	v_add_co_u32 v2, vcc_lo, v17, v2
	v_add_co_ci_u32_e32 v3, vcc_lo, 0, v3, vcc_lo
	s_delay_alu instid0(VALU_DEP_2) | instskip(NEXT) | instid1(VALU_DEP_2)
	v_add_co_u32 v2, vcc_lo, v2, v8
	v_add_co_ci_u32_e32 v2, vcc_lo, v3, v9, vcc_lo
	v_add_co_ci_u32_e32 v3, vcc_lo, 0, v12, vcc_lo
	s_delay_alu instid0(VALU_DEP_2) | instskip(NEXT) | instid1(VALU_DEP_2)
	v_add_co_u32 v8, vcc_lo, v2, v11
	v_add_co_ci_u32_e32 v9, vcc_lo, 0, v3, vcc_lo
	s_delay_alu instid0(VALU_DEP_2) | instskip(SKIP_1) | instid1(VALU_DEP_3)
	v_mul_lo_u32 v11, s7, v8
	v_mad_u64_u32 v[2:3], null, s6, v8, 0
	v_mul_lo_u32 v12, s6, v9
	s_delay_alu instid0(VALU_DEP_2) | instskip(NEXT) | instid1(VALU_DEP_2)
	v_sub_co_u32 v2, vcc_lo, v15, v2
	v_add3_u32 v3, v3, v12, v11
	s_delay_alu instid0(VALU_DEP_1) | instskip(NEXT) | instid1(VALU_DEP_1)
	v_sub_nc_u32_e32 v11, v13, v3
	v_subrev_co_ci_u32_e64 v11, s2, s7, v11, vcc_lo
	v_add_co_u32 v12, s2, v8, 2
	s_delay_alu instid0(VALU_DEP_1) | instskip(SKIP_3) | instid1(VALU_DEP_3)
	v_add_co_ci_u32_e64 v15, s2, 0, v9, s2
	v_sub_co_u32 v16, s2, v2, s6
	v_sub_co_ci_u32_e32 v3, vcc_lo, v13, v3, vcc_lo
	v_subrev_co_ci_u32_e64 v11, s2, 0, v11, s2
	v_cmp_le_u32_e32 vcc_lo, s6, v16
	s_delay_alu instid0(VALU_DEP_3) | instskip(SKIP_1) | instid1(VALU_DEP_4)
	v_cmp_eq_u32_e64 s2, s7, v3
	v_cndmask_b32_e64 v13, 0, -1, vcc_lo
	v_cmp_le_u32_e32 vcc_lo, s7, v11
	v_cndmask_b32_e64 v16, 0, -1, vcc_lo
	v_cmp_le_u32_e32 vcc_lo, s6, v2
	;; [unrolled: 2-line block ×3, first 2 shown]
	v_cndmask_b32_e64 v17, 0, -1, vcc_lo
	v_cmp_eq_u32_e32 vcc_lo, s7, v11
	s_delay_alu instid0(VALU_DEP_2) | instskip(SKIP_3) | instid1(VALU_DEP_3)
	v_cndmask_b32_e64 v2, v17, v2, s2
	v_cndmask_b32_e32 v11, v16, v13, vcc_lo
	v_add_co_u32 v13, vcc_lo, v8, 1
	v_add_co_ci_u32_e32 v16, vcc_lo, 0, v9, vcc_lo
	v_cmp_ne_u32_e32 vcc_lo, 0, v11
	s_delay_alu instid0(VALU_DEP_3) | instskip(NEXT) | instid1(VALU_DEP_3)
	v_cndmask_b32_e32 v11, v13, v12, vcc_lo
	v_cndmask_b32_e32 v3, v16, v15, vcc_lo
	v_cmp_ne_u32_e32 vcc_lo, 0, v2
	v_xor_b32_e32 v12, s4, v14
	s_delay_alu instid0(VALU_DEP_3) | instskip(SKIP_1) | instid1(VALU_DEP_2)
	v_cndmask_b32_e32 v2, v9, v3, vcc_lo
	v_cndmask_b32_e32 v3, v8, v11, vcc_lo
	v_xor_b32_e32 v8, v2, v12
	s_delay_alu instid0(VALU_DEP_2) | instskip(NEXT) | instid1(VALU_DEP_1)
	v_xor_b32_e32 v3, v3, v12
	v_sub_co_u32 v2, vcc_lo, v3, v12
	s_delay_alu instid0(VALU_DEP_3)
	v_sub_co_ci_u32_e32 v3, vcc_lo, v8, v12, vcc_lo
.LBB21_7:
	s_and_not1_saveexec_b32 s2, s9
	s_cbranch_execz .LBB21_9
; %bb.8:
	v_cvt_f32_u32_e32 v2, s3
	s_sub_i32 s4, 0, s3
	s_delay_alu instid0(VALU_DEP_1) | instskip(SKIP_2) | instid1(VALU_DEP_1)
	v_rcp_iflag_f32_e32 v2, v2
	s_waitcnt_depctr 0xfff
	v_mul_f32_e32 v2, 0x4f7ffffe, v2
	v_cvt_u32_f32_e32 v2, v2
	s_delay_alu instid0(VALU_DEP_1) | instskip(NEXT) | instid1(VALU_DEP_1)
	v_mul_lo_u32 v3, s4, v2
	v_mul_hi_u32 v3, v2, v3
	s_delay_alu instid0(VALU_DEP_1) | instskip(NEXT) | instid1(VALU_DEP_1)
	v_add_nc_u32_e32 v2, v2, v3
	v_mul_hi_u32 v2, v6, v2
	s_delay_alu instid0(VALU_DEP_1) | instskip(SKIP_1) | instid1(VALU_DEP_2)
	v_mul_lo_u32 v3, v2, s3
	v_add_nc_u32_e32 v8, 1, v2
	v_sub_nc_u32_e32 v3, v6, v3
	s_delay_alu instid0(VALU_DEP_1) | instskip(SKIP_1) | instid1(VALU_DEP_2)
	v_subrev_nc_u32_e32 v9, s3, v3
	v_cmp_le_u32_e32 vcc_lo, s3, v3
	v_dual_cndmask_b32 v3, v3, v9 :: v_dual_cndmask_b32 v2, v2, v8
	s_delay_alu instid0(VALU_DEP_1) | instskip(NEXT) | instid1(VALU_DEP_2)
	v_cmp_le_u32_e32 vcc_lo, s3, v3
	v_dual_mov_b32 v3, 0 :: v_dual_add_nc_u32 v8, 1, v2
	s_delay_alu instid0(VALU_DEP_1)
	v_cndmask_b32_e32 v2, v2, v8, vcc_lo
.LBB21_9:
	s_or_b32 exec_lo, exec_lo, s2
	s_delay_alu instid0(VALU_DEP_1) | instskip(NEXT) | instid1(VALU_DEP_2)
	v_mul_lo_u32 v11, s8, v2
	v_mul_lo_u32 v12, s3, v3
	v_mad_u64_u32 v[8:9], null, s3, v2, 0
	s_delay_alu instid0(VALU_DEP_1) | instskip(NEXT) | instid1(VALU_DEP_2)
	v_add3_u32 v9, v9, v12, v11
	v_sub_co_u32 v12, vcc_lo, v6, v8
	v_mov_b32_e32 v6, 0
	s_delay_alu instid0(VALU_DEP_3) | instskip(NEXT) | instid1(VALU_DEP_1)
	v_sub_co_ci_u32_e32 v13, vcc_lo, v7, v9, vcc_lo
	v_or_b32_e32 v7, s23, v13
	s_delay_alu instid0(VALU_DEP_1) | instskip(SKIP_1) | instid1(SALU_CYCLE_1)
	v_cmp_ne_u64_e32 vcc_lo, 0, v[6:7]
                                        ; implicit-def: $vgpr6_vgpr7
	s_and_saveexec_b32 s2, vcc_lo
	s_xor_b32 s3, exec_lo, s2
	s_cbranch_execz .LBB21_11
; %bb.10:
	s_ashr_i32 s4, s23, 31
	s_delay_alu instid0(SALU_CYCLE_1) | instskip(SKIP_2) | instid1(SALU_CYCLE_1)
	s_add_u32 s6, s22, s4
	s_mov_b32 s5, s4
	s_addc_u32 s7, s23, s4
	s_xor_b64 s[6:7], s[6:7], s[4:5]
	s_delay_alu instid0(SALU_CYCLE_1) | instskip(SKIP_3) | instid1(VALU_DEP_1)
	v_cvt_f32_u32_e32 v6, s6
	v_cvt_f32_u32_e32 v7, s7
	s_sub_u32 s2, 0, s6
	s_subb_u32 s5, 0, s7
	v_fmamk_f32 v6, v7, 0x4f800000, v6
	s_delay_alu instid0(VALU_DEP_1) | instskip(SKIP_2) | instid1(VALU_DEP_1)
	v_rcp_f32_e32 v6, v6
	s_waitcnt_depctr 0xfff
	v_mul_f32_e32 v6, 0x5f7ffffc, v6
	v_mul_f32_e32 v7, 0x2f800000, v6
	s_delay_alu instid0(VALU_DEP_1) | instskip(NEXT) | instid1(VALU_DEP_1)
	v_trunc_f32_e32 v7, v7
	v_fmamk_f32 v6, v7, 0xcf800000, v6
	v_cvt_u32_f32_e32 v7, v7
	s_delay_alu instid0(VALU_DEP_2) | instskip(NEXT) | instid1(VALU_DEP_2)
	v_cvt_u32_f32_e32 v6, v6
	v_mul_lo_u32 v8, s2, v7
	s_delay_alu instid0(VALU_DEP_2) | instskip(SKIP_1) | instid1(VALU_DEP_2)
	v_mul_hi_u32 v9, s2, v6
	v_mul_lo_u32 v11, s5, v6
	v_add_nc_u32_e32 v8, v9, v8
	v_mul_lo_u32 v9, s2, v6
	s_delay_alu instid0(VALU_DEP_2) | instskip(NEXT) | instid1(VALU_DEP_2)
	v_add_nc_u32_e32 v8, v8, v11
	v_mul_hi_u32 v11, v6, v9
	s_delay_alu instid0(VALU_DEP_2)
	v_mul_lo_u32 v14, v6, v8
	v_mul_hi_u32 v15, v6, v8
	v_mul_hi_u32 v16, v7, v9
	v_mul_lo_u32 v9, v7, v9
	v_mul_hi_u32 v17, v7, v8
	v_mul_lo_u32 v8, v7, v8
	v_add_co_u32 v11, vcc_lo, v11, v14
	v_add_co_ci_u32_e32 v14, vcc_lo, 0, v15, vcc_lo
	s_delay_alu instid0(VALU_DEP_2) | instskip(NEXT) | instid1(VALU_DEP_2)
	v_add_co_u32 v9, vcc_lo, v11, v9
	v_add_co_ci_u32_e32 v9, vcc_lo, v14, v16, vcc_lo
	v_add_co_ci_u32_e32 v11, vcc_lo, 0, v17, vcc_lo
	v_ashrrev_i32_e32 v16, 31, v13
	s_delay_alu instid0(VALU_DEP_3) | instskip(NEXT) | instid1(VALU_DEP_3)
	v_add_co_u32 v8, vcc_lo, v9, v8
	v_add_co_ci_u32_e32 v9, vcc_lo, 0, v11, vcc_lo
	s_delay_alu instid0(VALU_DEP_2) | instskip(NEXT) | instid1(VALU_DEP_2)
	v_add_co_u32 v6, vcc_lo, v6, v8
	v_add_co_ci_u32_e32 v7, vcc_lo, v7, v9, vcc_lo
	s_delay_alu instid0(VALU_DEP_2) | instskip(SKIP_1) | instid1(VALU_DEP_3)
	v_mul_hi_u32 v8, s2, v6
	v_mul_lo_u32 v11, s5, v6
	v_mul_lo_u32 v9, s2, v7
	s_delay_alu instid0(VALU_DEP_1) | instskip(SKIP_1) | instid1(VALU_DEP_2)
	v_add_nc_u32_e32 v8, v8, v9
	v_mul_lo_u32 v9, s2, v6
	v_add_nc_u32_e32 v8, v8, v11
	s_delay_alu instid0(VALU_DEP_2) | instskip(NEXT) | instid1(VALU_DEP_2)
	v_mul_hi_u32 v11, v6, v9
	v_mul_lo_u32 v14, v6, v8
	v_mul_hi_u32 v15, v6, v8
	v_mul_hi_u32 v17, v7, v9
	v_mul_lo_u32 v9, v7, v9
	v_mul_hi_u32 v18, v7, v8
	v_mul_lo_u32 v8, v7, v8
	v_add_co_u32 v11, vcc_lo, v11, v14
	v_add_co_ci_u32_e32 v14, vcc_lo, 0, v15, vcc_lo
	s_delay_alu instid0(VALU_DEP_2) | instskip(NEXT) | instid1(VALU_DEP_2)
	v_add_co_u32 v9, vcc_lo, v11, v9
	v_add_co_ci_u32_e32 v9, vcc_lo, v14, v17, vcc_lo
	v_add_co_ci_u32_e32 v11, vcc_lo, 0, v18, vcc_lo
	v_add_co_u32 v14, vcc_lo, v12, v16
	v_add_co_ci_u32_e32 v15, vcc_lo, v13, v16, vcc_lo
	s_delay_alu instid0(VALU_DEP_4) | instskip(NEXT) | instid1(VALU_DEP_4)
	v_add_co_u32 v8, vcc_lo, v9, v8
	v_add_co_ci_u32_e32 v9, vcc_lo, 0, v11, vcc_lo
	s_delay_alu instid0(VALU_DEP_4) | instskip(NEXT) | instid1(VALU_DEP_3)
	v_xor_b32_e32 v11, v14, v16
	v_add_co_u32 v14, vcc_lo, v6, v8
	s_delay_alu instid0(VALU_DEP_3) | instskip(SKIP_1) | instid1(VALU_DEP_3)
	v_add_co_ci_u32_e32 v17, vcc_lo, v7, v9, vcc_lo
	v_xor_b32_e32 v18, v15, v16
	v_mul_hi_u32 v19, v11, v14
	s_delay_alu instid0(VALU_DEP_3) | instskip(NEXT) | instid1(VALU_DEP_3)
	v_mad_u64_u32 v[6:7], null, v11, v17, 0
	v_mad_u64_u32 v[8:9], null, v18, v14, 0
	;; [unrolled: 1-line block ×3, first 2 shown]
	s_delay_alu instid0(VALU_DEP_3) | instskip(NEXT) | instid1(VALU_DEP_4)
	v_add_co_u32 v6, vcc_lo, v19, v6
	v_add_co_ci_u32_e32 v7, vcc_lo, 0, v7, vcc_lo
	s_delay_alu instid0(VALU_DEP_2) | instskip(NEXT) | instid1(VALU_DEP_2)
	v_add_co_u32 v6, vcc_lo, v6, v8
	v_add_co_ci_u32_e32 v6, vcc_lo, v7, v9, vcc_lo
	v_add_co_ci_u32_e32 v7, vcc_lo, 0, v15, vcc_lo
	s_delay_alu instid0(VALU_DEP_2) | instskip(NEXT) | instid1(VALU_DEP_2)
	v_add_co_u32 v8, vcc_lo, v6, v14
	v_add_co_ci_u32_e32 v9, vcc_lo, 0, v7, vcc_lo
	s_delay_alu instid0(VALU_DEP_2) | instskip(SKIP_1) | instid1(VALU_DEP_3)
	v_mul_lo_u32 v14, s7, v8
	v_mad_u64_u32 v[6:7], null, s6, v8, 0
	v_mul_lo_u32 v15, s6, v9
	s_delay_alu instid0(VALU_DEP_2) | instskip(NEXT) | instid1(VALU_DEP_2)
	v_sub_co_u32 v6, vcc_lo, v11, v6
	v_add3_u32 v7, v7, v15, v14
	s_delay_alu instid0(VALU_DEP_1) | instskip(NEXT) | instid1(VALU_DEP_1)
	v_sub_nc_u32_e32 v14, v18, v7
	v_subrev_co_ci_u32_e64 v11, s2, s7, v14, vcc_lo
	v_add_co_u32 v14, s2, v8, 2
	s_delay_alu instid0(VALU_DEP_1) | instskip(SKIP_3) | instid1(VALU_DEP_3)
	v_add_co_ci_u32_e64 v15, s2, 0, v9, s2
	v_sub_co_u32 v17, s2, v6, s6
	v_sub_co_ci_u32_e32 v7, vcc_lo, v18, v7, vcc_lo
	v_subrev_co_ci_u32_e64 v11, s2, 0, v11, s2
	v_cmp_le_u32_e32 vcc_lo, s6, v17
	s_delay_alu instid0(VALU_DEP_3) | instskip(SKIP_1) | instid1(VALU_DEP_4)
	v_cmp_eq_u32_e64 s2, s7, v7
	v_cndmask_b32_e64 v17, 0, -1, vcc_lo
	v_cmp_le_u32_e32 vcc_lo, s7, v11
	v_cndmask_b32_e64 v18, 0, -1, vcc_lo
	v_cmp_le_u32_e32 vcc_lo, s6, v6
	;; [unrolled: 2-line block ×3, first 2 shown]
	v_cndmask_b32_e64 v19, 0, -1, vcc_lo
	v_cmp_eq_u32_e32 vcc_lo, s7, v11
	s_delay_alu instid0(VALU_DEP_2) | instskip(SKIP_3) | instid1(VALU_DEP_3)
	v_cndmask_b32_e64 v6, v19, v6, s2
	v_cndmask_b32_e32 v11, v18, v17, vcc_lo
	v_add_co_u32 v17, vcc_lo, v8, 1
	v_add_co_ci_u32_e32 v18, vcc_lo, 0, v9, vcc_lo
	v_cmp_ne_u32_e32 vcc_lo, 0, v11
	s_delay_alu instid0(VALU_DEP_3) | instskip(NEXT) | instid1(VALU_DEP_3)
	v_cndmask_b32_e32 v11, v17, v14, vcc_lo
	v_cndmask_b32_e32 v7, v18, v15, vcc_lo
	v_cmp_ne_u32_e32 vcc_lo, 0, v6
	v_xor_b32_e32 v14, s4, v16
	s_delay_alu instid0(VALU_DEP_3) | instskip(SKIP_1) | instid1(VALU_DEP_2)
	v_cndmask_b32_e32 v6, v9, v7, vcc_lo
	v_cndmask_b32_e32 v7, v8, v11, vcc_lo
	v_xor_b32_e32 v8, v6, v14
	s_delay_alu instid0(VALU_DEP_2) | instskip(NEXT) | instid1(VALU_DEP_1)
	v_xor_b32_e32 v7, v7, v14
	v_sub_co_u32 v6, vcc_lo, v7, v14
	s_delay_alu instid0(VALU_DEP_3)
	v_sub_co_ci_u32_e32 v7, vcc_lo, v8, v14, vcc_lo
.LBB21_11:
	s_and_not1_saveexec_b32 s2, s3
	s_cbranch_execz .LBB21_13
; %bb.12:
	v_cvt_f32_u32_e32 v6, s22
	s_sub_i32 s3, 0, s22
	s_delay_alu instid0(VALU_DEP_1) | instskip(SKIP_2) | instid1(VALU_DEP_1)
	v_rcp_iflag_f32_e32 v6, v6
	s_waitcnt_depctr 0xfff
	v_mul_f32_e32 v6, 0x4f7ffffe, v6
	v_cvt_u32_f32_e32 v6, v6
	s_delay_alu instid0(VALU_DEP_1) | instskip(NEXT) | instid1(VALU_DEP_1)
	v_mul_lo_u32 v7, s3, v6
	v_mul_hi_u32 v7, v6, v7
	s_delay_alu instid0(VALU_DEP_1) | instskip(NEXT) | instid1(VALU_DEP_1)
	v_add_nc_u32_e32 v6, v6, v7
	v_mul_hi_u32 v6, v12, v6
	s_delay_alu instid0(VALU_DEP_1) | instskip(SKIP_1) | instid1(VALU_DEP_2)
	v_mul_lo_u32 v7, v6, s22
	v_add_nc_u32_e32 v8, 1, v6
	v_sub_nc_u32_e32 v7, v12, v7
	s_delay_alu instid0(VALU_DEP_1) | instskip(SKIP_1) | instid1(VALU_DEP_2)
	v_subrev_nc_u32_e32 v9, s22, v7
	v_cmp_le_u32_e32 vcc_lo, s22, v7
	v_dual_cndmask_b32 v7, v7, v9 :: v_dual_cndmask_b32 v6, v6, v8
	s_delay_alu instid0(VALU_DEP_1) | instskip(NEXT) | instid1(VALU_DEP_2)
	v_cmp_le_u32_e32 vcc_lo, s22, v7
	v_dual_mov_b32 v7, 0 :: v_dual_add_nc_u32 v8, 1, v6
	s_delay_alu instid0(VALU_DEP_1)
	v_cndmask_b32_e32 v6, v6, v8, vcc_lo
.LBB21_13:
	s_or_b32 exec_lo, exec_lo, s2
	s_load_b512 s[36:51], s[0:1], 0x40
	v_mov_b32_e32 v8, 0
	s_waitcnt lgkmcnt(0)
	s_mul_i32 s2, s42, s41
	s_mul_hi_u32 s4, s42, s40
	s_mul_i32 s5, s43, s40
	s_mul_i32 s3, s42, s40
	s_add_i32 s8, s4, s2
	s_mul_i32 s2, s3, s45
	s_mul_hi_u32 s4, s3, s44
	s_add_i32 s8, s8, s5
	s_add_i32 s2, s4, s2
	s_mul_i32 s4, s8, s44
	s_mul_i32 s10, s3, s44
	s_add_i32 s9, s2, s4
	s_delay_alu instid0(SALU_CYCLE_1) | instskip(NEXT) | instid1(VALU_DEP_1)
	v_or_b32_e32 v9, s9, v5
	v_cmp_ne_u64_e32 vcc_lo, 0, v[8:9]
                                        ; implicit-def: $vgpr8_vgpr9
	s_and_saveexec_b32 s2, vcc_lo
	s_delay_alu instid0(SALU_CYCLE_1)
	s_xor_b32 s11, exec_lo, s2
	s_cbranch_execz .LBB21_15
; %bb.14:
	s_ashr_i32 s4, s9, 31
	s_delay_alu instid0(SALU_CYCLE_1) | instskip(SKIP_2) | instid1(SALU_CYCLE_1)
	s_add_u32 s6, s10, s4
	s_mov_b32 s5, s4
	s_addc_u32 s7, s9, s4
	s_xor_b64 s[6:7], s[6:7], s[4:5]
	s_delay_alu instid0(SALU_CYCLE_1) | instskip(SKIP_3) | instid1(VALU_DEP_1)
	v_cvt_f32_u32_e32 v8, s6
	v_cvt_f32_u32_e32 v9, s7
	s_sub_u32 s2, 0, s6
	s_subb_u32 s5, 0, s7
	v_fmamk_f32 v8, v9, 0x4f800000, v8
	s_delay_alu instid0(VALU_DEP_1) | instskip(SKIP_2) | instid1(VALU_DEP_1)
	v_rcp_f32_e32 v8, v8
	s_waitcnt_depctr 0xfff
	v_mul_f32_e32 v8, 0x5f7ffffc, v8
	v_mul_f32_e32 v9, 0x2f800000, v8
	s_delay_alu instid0(VALU_DEP_1) | instskip(NEXT) | instid1(VALU_DEP_1)
	v_trunc_f32_e32 v9, v9
	v_fmamk_f32 v8, v9, 0xcf800000, v8
	v_cvt_u32_f32_e32 v9, v9
	s_delay_alu instid0(VALU_DEP_2) | instskip(NEXT) | instid1(VALU_DEP_2)
	v_cvt_u32_f32_e32 v8, v8
	v_mul_lo_u32 v11, s2, v9
	s_delay_alu instid0(VALU_DEP_2) | instskip(SKIP_1) | instid1(VALU_DEP_2)
	v_mul_hi_u32 v14, s2, v8
	v_mul_lo_u32 v15, s5, v8
	v_add_nc_u32_e32 v11, v14, v11
	v_mul_lo_u32 v14, s2, v8
	s_delay_alu instid0(VALU_DEP_2) | instskip(NEXT) | instid1(VALU_DEP_2)
	v_add_nc_u32_e32 v11, v11, v15
	v_mul_hi_u32 v15, v8, v14
	s_delay_alu instid0(VALU_DEP_2)
	v_mul_lo_u32 v16, v8, v11
	v_mul_hi_u32 v17, v8, v11
	v_mul_hi_u32 v18, v9, v14
	v_mul_lo_u32 v14, v9, v14
	v_mul_hi_u32 v19, v9, v11
	v_mul_lo_u32 v11, v9, v11
	v_add_co_u32 v15, vcc_lo, v15, v16
	v_add_co_ci_u32_e32 v16, vcc_lo, 0, v17, vcc_lo
	s_delay_alu instid0(VALU_DEP_2) | instskip(NEXT) | instid1(VALU_DEP_2)
	v_add_co_u32 v14, vcc_lo, v15, v14
	v_add_co_ci_u32_e32 v14, vcc_lo, v16, v18, vcc_lo
	v_add_co_ci_u32_e32 v15, vcc_lo, 0, v19, vcc_lo
	s_delay_alu instid0(VALU_DEP_2) | instskip(NEXT) | instid1(VALU_DEP_2)
	v_add_co_u32 v11, vcc_lo, v14, v11
	v_add_co_ci_u32_e32 v14, vcc_lo, 0, v15, vcc_lo
	s_delay_alu instid0(VALU_DEP_2) | instskip(NEXT) | instid1(VALU_DEP_2)
	v_add_co_u32 v8, vcc_lo, v8, v11
	v_add_co_ci_u32_e32 v9, vcc_lo, v9, v14, vcc_lo
	s_delay_alu instid0(VALU_DEP_2) | instskip(SKIP_1) | instid1(VALU_DEP_3)
	v_mul_hi_u32 v11, s2, v8
	v_mul_lo_u32 v15, s5, v8
	v_mul_lo_u32 v14, s2, v9
	s_delay_alu instid0(VALU_DEP_1) | instskip(SKIP_1) | instid1(VALU_DEP_2)
	v_add_nc_u32_e32 v11, v11, v14
	v_mul_lo_u32 v14, s2, v8
	v_add_nc_u32_e32 v11, v11, v15
	s_delay_alu instid0(VALU_DEP_2) | instskip(NEXT) | instid1(VALU_DEP_2)
	v_mul_hi_u32 v15, v8, v14
	v_mul_lo_u32 v16, v8, v11
	v_mul_hi_u32 v17, v8, v11
	v_mul_hi_u32 v18, v9, v14
	v_mul_lo_u32 v14, v9, v14
	v_mul_hi_u32 v19, v9, v11
	v_mul_lo_u32 v11, v9, v11
	v_add_co_u32 v15, vcc_lo, v15, v16
	v_add_co_ci_u32_e32 v16, vcc_lo, 0, v17, vcc_lo
	s_delay_alu instid0(VALU_DEP_2) | instskip(NEXT) | instid1(VALU_DEP_2)
	v_add_co_u32 v14, vcc_lo, v15, v14
	v_add_co_ci_u32_e32 v14, vcc_lo, v16, v18, vcc_lo
	v_add_co_ci_u32_e32 v15, vcc_lo, 0, v19, vcc_lo
	v_add_co_u32 v16, vcc_lo, v4, v10
	v_add_co_ci_u32_e32 v17, vcc_lo, v5, v10, vcc_lo
	s_delay_alu instid0(VALU_DEP_4) | instskip(NEXT) | instid1(VALU_DEP_4)
	v_add_co_u32 v11, vcc_lo, v14, v11
	v_add_co_ci_u32_e32 v14, vcc_lo, 0, v15, vcc_lo
	s_delay_alu instid0(VALU_DEP_4) | instskip(NEXT) | instid1(VALU_DEP_3)
	v_xor_b32_e32 v18, v16, v10
	v_add_co_u32 v11, vcc_lo, v8, v11
	s_delay_alu instid0(VALU_DEP_3) | instskip(SKIP_1) | instid1(VALU_DEP_3)
	v_add_co_ci_u32_e32 v19, vcc_lo, v9, v14, vcc_lo
	v_xor_b32_e32 v20, v17, v10
	v_mul_hi_u32 v21, v18, v11
	v_xor_b32_e32 v10, s4, v10
	s_delay_alu instid0(VALU_DEP_4) | instskip(NEXT) | instid1(VALU_DEP_4)
	v_mad_u64_u32 v[8:9], null, v18, v19, 0
	v_mad_u64_u32 v[14:15], null, v20, v11, 0
	;; [unrolled: 1-line block ×3, first 2 shown]
	s_delay_alu instid0(VALU_DEP_3) | instskip(NEXT) | instid1(VALU_DEP_4)
	v_add_co_u32 v8, vcc_lo, v21, v8
	v_add_co_ci_u32_e32 v9, vcc_lo, 0, v9, vcc_lo
	s_delay_alu instid0(VALU_DEP_2) | instskip(NEXT) | instid1(VALU_DEP_2)
	v_add_co_u32 v8, vcc_lo, v8, v14
	v_add_co_ci_u32_e32 v8, vcc_lo, v9, v15, vcc_lo
	v_add_co_ci_u32_e32 v9, vcc_lo, 0, v17, vcc_lo
	s_delay_alu instid0(VALU_DEP_2) | instskip(NEXT) | instid1(VALU_DEP_2)
	v_add_co_u32 v11, vcc_lo, v8, v16
	v_add_co_ci_u32_e32 v14, vcc_lo, 0, v9, vcc_lo
	s_delay_alu instid0(VALU_DEP_2) | instskip(SKIP_1) | instid1(VALU_DEP_3)
	v_mul_lo_u32 v15, s7, v11
	v_mad_u64_u32 v[8:9], null, s6, v11, 0
	v_mul_lo_u32 v16, s6, v14
	s_delay_alu instid0(VALU_DEP_2) | instskip(NEXT) | instid1(VALU_DEP_2)
	v_sub_co_u32 v8, vcc_lo, v18, v8
	v_add3_u32 v9, v9, v16, v15
	s_delay_alu instid0(VALU_DEP_1) | instskip(NEXT) | instid1(VALU_DEP_1)
	v_sub_nc_u32_e32 v15, v20, v9
	v_subrev_co_ci_u32_e64 v15, s2, s7, v15, vcc_lo
	v_add_co_u32 v16, s2, v11, 2
	s_delay_alu instid0(VALU_DEP_1) | instskip(SKIP_3) | instid1(VALU_DEP_3)
	v_add_co_ci_u32_e64 v17, s2, 0, v14, s2
	v_sub_co_u32 v18, s2, v8, s6
	v_sub_co_ci_u32_e32 v9, vcc_lo, v20, v9, vcc_lo
	v_subrev_co_ci_u32_e64 v15, s2, 0, v15, s2
	v_cmp_le_u32_e32 vcc_lo, s6, v18
	s_delay_alu instid0(VALU_DEP_3) | instskip(SKIP_1) | instid1(VALU_DEP_4)
	v_cmp_eq_u32_e64 s2, s7, v9
	v_cndmask_b32_e64 v18, 0, -1, vcc_lo
	v_cmp_le_u32_e32 vcc_lo, s7, v15
	v_cndmask_b32_e64 v19, 0, -1, vcc_lo
	v_cmp_le_u32_e32 vcc_lo, s6, v8
	;; [unrolled: 2-line block ×3, first 2 shown]
	v_cndmask_b32_e64 v20, 0, -1, vcc_lo
	v_cmp_eq_u32_e32 vcc_lo, s7, v15
	s_delay_alu instid0(VALU_DEP_2) | instskip(SKIP_3) | instid1(VALU_DEP_3)
	v_cndmask_b32_e64 v8, v20, v8, s2
	v_cndmask_b32_e32 v15, v19, v18, vcc_lo
	v_add_co_u32 v18, vcc_lo, v11, 1
	v_add_co_ci_u32_e32 v19, vcc_lo, 0, v14, vcc_lo
	v_cmp_ne_u32_e32 vcc_lo, 0, v15
	s_delay_alu instid0(VALU_DEP_2) | instskip(NEXT) | instid1(VALU_DEP_4)
	v_cndmask_b32_e32 v9, v19, v17, vcc_lo
	v_cndmask_b32_e32 v15, v18, v16, vcc_lo
	v_cmp_ne_u32_e32 vcc_lo, 0, v8
	s_delay_alu instid0(VALU_DEP_2) | instskip(NEXT) | instid1(VALU_DEP_1)
	v_dual_cndmask_b32 v8, v14, v9 :: v_dual_cndmask_b32 v9, v11, v15
	v_xor_b32_e32 v11, v8, v10
	s_delay_alu instid0(VALU_DEP_2) | instskip(NEXT) | instid1(VALU_DEP_1)
	v_xor_b32_e32 v9, v9, v10
	v_sub_co_u32 v8, vcc_lo, v9, v10
	s_delay_alu instid0(VALU_DEP_3)
	v_sub_co_ci_u32_e32 v9, vcc_lo, v11, v10, vcc_lo
.LBB21_15:
	s_and_not1_saveexec_b32 s2, s11
	s_cbranch_execz .LBB21_17
; %bb.16:
	v_cvt_f32_u32_e32 v8, s10
	s_sub_i32 s4, 0, s10
	s_delay_alu instid0(VALU_DEP_1) | instskip(SKIP_2) | instid1(VALU_DEP_1)
	v_rcp_iflag_f32_e32 v8, v8
	s_waitcnt_depctr 0xfff
	v_mul_f32_e32 v8, 0x4f7ffffe, v8
	v_cvt_u32_f32_e32 v8, v8
	s_delay_alu instid0(VALU_DEP_1) | instskip(NEXT) | instid1(VALU_DEP_1)
	v_mul_lo_u32 v9, s4, v8
	v_mul_hi_u32 v9, v8, v9
	s_delay_alu instid0(VALU_DEP_1) | instskip(NEXT) | instid1(VALU_DEP_1)
	v_add_nc_u32_e32 v8, v8, v9
	v_mul_hi_u32 v8, v4, v8
	s_delay_alu instid0(VALU_DEP_1) | instskip(SKIP_1) | instid1(VALU_DEP_2)
	v_mul_lo_u32 v9, v8, s10
	v_add_nc_u32_e32 v10, 1, v8
	v_sub_nc_u32_e32 v9, v4, v9
	s_delay_alu instid0(VALU_DEP_1) | instskip(SKIP_1) | instid1(VALU_DEP_2)
	v_subrev_nc_u32_e32 v11, s10, v9
	v_cmp_le_u32_e32 vcc_lo, s10, v9
	v_dual_cndmask_b32 v9, v9, v11 :: v_dual_cndmask_b32 v8, v8, v10
	s_delay_alu instid0(VALU_DEP_1) | instskip(NEXT) | instid1(VALU_DEP_2)
	v_cmp_le_u32_e32 vcc_lo, s10, v9
	v_dual_mov_b32 v9, 0 :: v_dual_add_nc_u32 v10, 1, v8
	s_delay_alu instid0(VALU_DEP_1)
	v_cndmask_b32_e32 v8, v8, v10, vcc_lo
.LBB21_17:
	s_or_b32 exec_lo, exec_lo, s2
	s_delay_alu instid0(VALU_DEP_1) | instskip(NEXT) | instid1(VALU_DEP_2)
	v_mul_lo_u32 v14, s9, v8
	v_mul_lo_u32 v15, s10, v9
	v_mad_u64_u32 v[10:11], null, s10, v8, 0
	s_delay_alu instid0(VALU_DEP_1) | instskip(NEXT) | instid1(VALU_DEP_2)
	v_add3_u32 v11, v11, v15, v14
	v_sub_co_u32 v10, vcc_lo, v4, v10
	v_mov_b32_e32 v4, 0
	s_delay_alu instid0(VALU_DEP_3) | instskip(NEXT) | instid1(VALU_DEP_1)
	v_sub_co_ci_u32_e32 v11, vcc_lo, v5, v11, vcc_lo
	v_or_b32_e32 v5, s8, v11
	s_delay_alu instid0(VALU_DEP_1) | instskip(SKIP_1) | instid1(SALU_CYCLE_1)
	v_cmp_ne_u64_e32 vcc_lo, 0, v[4:5]
                                        ; implicit-def: $vgpr4_vgpr5
	s_and_saveexec_b32 s2, vcc_lo
	s_xor_b32 s9, exec_lo, s2
	s_cbranch_execz .LBB21_19
; %bb.18:
	s_ashr_i32 s4, s8, 31
	s_delay_alu instid0(SALU_CYCLE_1) | instskip(SKIP_2) | instid1(SALU_CYCLE_1)
	s_add_u32 s6, s3, s4
	s_mov_b32 s5, s4
	s_addc_u32 s7, s8, s4
	s_xor_b64 s[6:7], s[6:7], s[4:5]
	s_delay_alu instid0(SALU_CYCLE_1) | instskip(SKIP_3) | instid1(VALU_DEP_1)
	v_cvt_f32_u32_e32 v4, s6
	v_cvt_f32_u32_e32 v5, s7
	s_sub_u32 s2, 0, s6
	s_subb_u32 s5, 0, s7
	v_fmamk_f32 v4, v5, 0x4f800000, v4
	s_delay_alu instid0(VALU_DEP_1) | instskip(SKIP_2) | instid1(VALU_DEP_1)
	v_rcp_f32_e32 v4, v4
	s_waitcnt_depctr 0xfff
	v_mul_f32_e32 v4, 0x5f7ffffc, v4
	v_mul_f32_e32 v5, 0x2f800000, v4
	s_delay_alu instid0(VALU_DEP_1) | instskip(NEXT) | instid1(VALU_DEP_1)
	v_trunc_f32_e32 v5, v5
	v_fmamk_f32 v4, v5, 0xcf800000, v4
	v_cvt_u32_f32_e32 v5, v5
	s_delay_alu instid0(VALU_DEP_2) | instskip(NEXT) | instid1(VALU_DEP_2)
	v_cvt_u32_f32_e32 v4, v4
	v_mul_lo_u32 v14, s2, v5
	s_delay_alu instid0(VALU_DEP_2) | instskip(SKIP_1) | instid1(VALU_DEP_2)
	v_mul_hi_u32 v15, s2, v4
	v_mul_lo_u32 v16, s5, v4
	v_add_nc_u32_e32 v14, v15, v14
	v_mul_lo_u32 v15, s2, v4
	s_delay_alu instid0(VALU_DEP_2) | instskip(NEXT) | instid1(VALU_DEP_2)
	v_add_nc_u32_e32 v14, v14, v16
	v_mul_hi_u32 v16, v4, v15
	s_delay_alu instid0(VALU_DEP_2)
	v_mul_lo_u32 v17, v4, v14
	v_mul_hi_u32 v18, v4, v14
	v_mul_hi_u32 v19, v5, v15
	v_mul_lo_u32 v15, v5, v15
	v_mul_hi_u32 v20, v5, v14
	v_mul_lo_u32 v14, v5, v14
	v_add_co_u32 v16, vcc_lo, v16, v17
	v_add_co_ci_u32_e32 v17, vcc_lo, 0, v18, vcc_lo
	s_delay_alu instid0(VALU_DEP_2) | instskip(NEXT) | instid1(VALU_DEP_2)
	v_add_co_u32 v15, vcc_lo, v16, v15
	v_add_co_ci_u32_e32 v15, vcc_lo, v17, v19, vcc_lo
	v_add_co_ci_u32_e32 v16, vcc_lo, 0, v20, vcc_lo
	v_ashrrev_i32_e32 v19, 31, v11
	s_delay_alu instid0(VALU_DEP_3) | instskip(NEXT) | instid1(VALU_DEP_3)
	v_add_co_u32 v14, vcc_lo, v15, v14
	v_add_co_ci_u32_e32 v15, vcc_lo, 0, v16, vcc_lo
	s_delay_alu instid0(VALU_DEP_2) | instskip(NEXT) | instid1(VALU_DEP_2)
	v_add_co_u32 v4, vcc_lo, v4, v14
	v_add_co_ci_u32_e32 v5, vcc_lo, v5, v15, vcc_lo
	s_delay_alu instid0(VALU_DEP_2) | instskip(SKIP_1) | instid1(VALU_DEP_3)
	v_mul_hi_u32 v14, s2, v4
	v_mul_lo_u32 v16, s5, v4
	v_mul_lo_u32 v15, s2, v5
	s_delay_alu instid0(VALU_DEP_1) | instskip(SKIP_1) | instid1(VALU_DEP_2)
	v_add_nc_u32_e32 v14, v14, v15
	v_mul_lo_u32 v15, s2, v4
	v_add_nc_u32_e32 v14, v14, v16
	s_delay_alu instid0(VALU_DEP_2) | instskip(NEXT) | instid1(VALU_DEP_2)
	v_mul_hi_u32 v16, v4, v15
	v_mul_lo_u32 v17, v4, v14
	v_mul_hi_u32 v18, v4, v14
	v_mul_hi_u32 v20, v5, v15
	v_mul_lo_u32 v15, v5, v15
	v_mul_hi_u32 v21, v5, v14
	v_mul_lo_u32 v14, v5, v14
	v_add_co_u32 v16, vcc_lo, v16, v17
	v_add_co_ci_u32_e32 v17, vcc_lo, 0, v18, vcc_lo
	s_delay_alu instid0(VALU_DEP_2) | instskip(NEXT) | instid1(VALU_DEP_2)
	v_add_co_u32 v15, vcc_lo, v16, v15
	v_add_co_ci_u32_e32 v15, vcc_lo, v17, v20, vcc_lo
	v_add_co_ci_u32_e32 v16, vcc_lo, 0, v21, vcc_lo
	v_add_co_u32 v17, vcc_lo, v10, v19
	v_add_co_ci_u32_e32 v18, vcc_lo, v11, v19, vcc_lo
	s_delay_alu instid0(VALU_DEP_4) | instskip(NEXT) | instid1(VALU_DEP_4)
	v_add_co_u32 v14, vcc_lo, v15, v14
	v_add_co_ci_u32_e32 v15, vcc_lo, 0, v16, vcc_lo
	s_delay_alu instid0(VALU_DEP_4) | instskip(NEXT) | instid1(VALU_DEP_3)
	v_xor_b32_e32 v20, v17, v19
	v_add_co_u32 v16, vcc_lo, v4, v14
	s_delay_alu instid0(VALU_DEP_3) | instskip(SKIP_1) | instid1(VALU_DEP_3)
	v_add_co_ci_u32_e32 v21, vcc_lo, v5, v15, vcc_lo
	v_xor_b32_e32 v18, v18, v19
	v_mul_hi_u32 v22, v20, v16
	s_delay_alu instid0(VALU_DEP_3) | instskip(NEXT) | instid1(VALU_DEP_3)
	v_mad_u64_u32 v[4:5], null, v20, v21, 0
	v_mad_u64_u32 v[14:15], null, v18, v16, 0
	;; [unrolled: 1-line block ×3, first 2 shown]
	s_delay_alu instid0(VALU_DEP_3) | instskip(NEXT) | instid1(VALU_DEP_4)
	v_add_co_u32 v4, vcc_lo, v22, v4
	v_add_co_ci_u32_e32 v5, vcc_lo, 0, v5, vcc_lo
	s_delay_alu instid0(VALU_DEP_2) | instskip(NEXT) | instid1(VALU_DEP_2)
	v_add_co_u32 v4, vcc_lo, v4, v14
	v_add_co_ci_u32_e32 v4, vcc_lo, v5, v15, vcc_lo
	v_add_co_ci_u32_e32 v5, vcc_lo, 0, v17, vcc_lo
	s_delay_alu instid0(VALU_DEP_2) | instskip(NEXT) | instid1(VALU_DEP_2)
	v_add_co_u32 v14, vcc_lo, v4, v16
	v_add_co_ci_u32_e32 v15, vcc_lo, 0, v5, vcc_lo
	s_delay_alu instid0(VALU_DEP_2) | instskip(SKIP_1) | instid1(VALU_DEP_3)
	v_mul_lo_u32 v16, s7, v14
	v_mad_u64_u32 v[4:5], null, s6, v14, 0
	v_mul_lo_u32 v17, s6, v15
	s_delay_alu instid0(VALU_DEP_2) | instskip(NEXT) | instid1(VALU_DEP_2)
	v_sub_co_u32 v4, vcc_lo, v20, v4
	v_add3_u32 v5, v5, v17, v16
	s_delay_alu instid0(VALU_DEP_1) | instskip(NEXT) | instid1(VALU_DEP_1)
	v_sub_nc_u32_e32 v16, v18, v5
	v_subrev_co_ci_u32_e64 v16, s2, s7, v16, vcc_lo
	v_add_co_u32 v17, s2, v14, 2
	s_delay_alu instid0(VALU_DEP_1) | instskip(SKIP_3) | instid1(VALU_DEP_3)
	v_add_co_ci_u32_e64 v20, s2, 0, v15, s2
	v_sub_co_u32 v21, s2, v4, s6
	v_sub_co_ci_u32_e32 v5, vcc_lo, v18, v5, vcc_lo
	v_subrev_co_ci_u32_e64 v16, s2, 0, v16, s2
	v_cmp_le_u32_e32 vcc_lo, s6, v21
	s_delay_alu instid0(VALU_DEP_3) | instskip(SKIP_1) | instid1(VALU_DEP_4)
	v_cmp_eq_u32_e64 s2, s7, v5
	v_cndmask_b32_e64 v18, 0, -1, vcc_lo
	v_cmp_le_u32_e32 vcc_lo, s7, v16
	v_cndmask_b32_e64 v21, 0, -1, vcc_lo
	v_cmp_le_u32_e32 vcc_lo, s6, v4
	;; [unrolled: 2-line block ×3, first 2 shown]
	v_cndmask_b32_e64 v22, 0, -1, vcc_lo
	v_cmp_eq_u32_e32 vcc_lo, s7, v16
	s_delay_alu instid0(VALU_DEP_2) | instskip(SKIP_3) | instid1(VALU_DEP_3)
	v_cndmask_b32_e64 v4, v22, v4, s2
	v_cndmask_b32_e32 v16, v21, v18, vcc_lo
	v_add_co_u32 v18, vcc_lo, v14, 1
	v_add_co_ci_u32_e32 v21, vcc_lo, 0, v15, vcc_lo
	v_cmp_ne_u32_e32 vcc_lo, 0, v16
	s_delay_alu instid0(VALU_DEP_2) | instskip(SKIP_2) | instid1(VALU_DEP_3)
	v_dual_cndmask_b32 v5, v21, v20 :: v_dual_cndmask_b32 v16, v18, v17
	v_cmp_ne_u32_e32 vcc_lo, 0, v4
	v_xor_b32_e32 v17, s4, v19
	v_dual_cndmask_b32 v4, v15, v5 :: v_dual_cndmask_b32 v5, v14, v16
	s_delay_alu instid0(VALU_DEP_1) | instskip(NEXT) | instid1(VALU_DEP_2)
	v_xor_b32_e32 v14, v4, v17
	v_xor_b32_e32 v5, v5, v17
	s_delay_alu instid0(VALU_DEP_1) | instskip(NEXT) | instid1(VALU_DEP_3)
	v_sub_co_u32 v4, vcc_lo, v5, v17
	v_sub_co_ci_u32_e32 v5, vcc_lo, v14, v17, vcc_lo
.LBB21_19:
	s_and_not1_saveexec_b32 s2, s9
	s_cbranch_execz .LBB21_21
; %bb.20:
	v_cvt_f32_u32_e32 v4, s3
	s_sub_i32 s4, 0, s3
	s_delay_alu instid0(VALU_DEP_1) | instskip(SKIP_2) | instid1(VALU_DEP_1)
	v_rcp_iflag_f32_e32 v4, v4
	s_waitcnt_depctr 0xfff
	v_mul_f32_e32 v4, 0x4f7ffffe, v4
	v_cvt_u32_f32_e32 v4, v4
	s_delay_alu instid0(VALU_DEP_1) | instskip(NEXT) | instid1(VALU_DEP_1)
	v_mul_lo_u32 v5, s4, v4
	v_mul_hi_u32 v5, v4, v5
	s_delay_alu instid0(VALU_DEP_1) | instskip(NEXT) | instid1(VALU_DEP_1)
	v_add_nc_u32_e32 v4, v4, v5
	v_mul_hi_u32 v4, v10, v4
	s_delay_alu instid0(VALU_DEP_1) | instskip(SKIP_1) | instid1(VALU_DEP_2)
	v_mul_lo_u32 v5, v4, s3
	v_add_nc_u32_e32 v14, 1, v4
	v_sub_nc_u32_e32 v5, v10, v5
	s_delay_alu instid0(VALU_DEP_1) | instskip(SKIP_1) | instid1(VALU_DEP_2)
	v_subrev_nc_u32_e32 v15, s3, v5
	v_cmp_le_u32_e32 vcc_lo, s3, v5
	v_dual_cndmask_b32 v5, v5, v15 :: v_dual_cndmask_b32 v4, v4, v14
	s_delay_alu instid0(VALU_DEP_1) | instskip(NEXT) | instid1(VALU_DEP_2)
	v_cmp_le_u32_e32 vcc_lo, s3, v5
	v_dual_mov_b32 v5, 0 :: v_dual_add_nc_u32 v14, 1, v4
	s_delay_alu instid0(VALU_DEP_1)
	v_cndmask_b32_e32 v4, v4, v14, vcc_lo
.LBB21_21:
	s_or_b32 exec_lo, exec_lo, s2
	s_delay_alu instid0(VALU_DEP_1) | instskip(NEXT) | instid1(VALU_DEP_2)
	v_mul_lo_u32 v16, s8, v4
	v_mul_lo_u32 v17, s3, v5
	v_mad_u64_u32 v[14:15], null, s3, v4, 0
	s_delay_alu instid0(VALU_DEP_1) | instskip(NEXT) | instid1(VALU_DEP_2)
	v_add3_u32 v15, v15, v17, v16
	v_sub_co_u32 v14, vcc_lo, v10, v14
	v_mov_b32_e32 v10, 0
	s_delay_alu instid0(VALU_DEP_3) | instskip(NEXT) | instid1(VALU_DEP_1)
	v_sub_co_ci_u32_e32 v15, vcc_lo, v11, v15, vcc_lo
	v_or_b32_e32 v11, s41, v15
	s_delay_alu instid0(VALU_DEP_1) | instskip(SKIP_1) | instid1(SALU_CYCLE_1)
	v_cmp_ne_u64_e32 vcc_lo, 0, v[10:11]
                                        ; implicit-def: $vgpr10_vgpr11
	s_and_saveexec_b32 s2, vcc_lo
	s_xor_b32 s3, exec_lo, s2
	s_cbranch_execz .LBB21_23
; %bb.22:
	s_ashr_i32 s4, s41, 31
	s_delay_alu instid0(SALU_CYCLE_1) | instskip(SKIP_2) | instid1(SALU_CYCLE_1)
	s_add_u32 s6, s40, s4
	s_mov_b32 s5, s4
	s_addc_u32 s7, s41, s4
	s_xor_b64 s[6:7], s[6:7], s[4:5]
	s_delay_alu instid0(SALU_CYCLE_1) | instskip(SKIP_3) | instid1(VALU_DEP_1)
	v_cvt_f32_u32_e32 v10, s6
	v_cvt_f32_u32_e32 v11, s7
	s_sub_u32 s2, 0, s6
	s_subb_u32 s5, 0, s7
	v_fmamk_f32 v10, v11, 0x4f800000, v10
	s_delay_alu instid0(VALU_DEP_1) | instskip(SKIP_2) | instid1(VALU_DEP_1)
	v_rcp_f32_e32 v10, v10
	s_waitcnt_depctr 0xfff
	v_mul_f32_e32 v10, 0x5f7ffffc, v10
	v_mul_f32_e32 v11, 0x2f800000, v10
	s_delay_alu instid0(VALU_DEP_1) | instskip(NEXT) | instid1(VALU_DEP_1)
	v_trunc_f32_e32 v11, v11
	v_fmamk_f32 v10, v11, 0xcf800000, v10
	v_cvt_u32_f32_e32 v11, v11
	s_delay_alu instid0(VALU_DEP_2) | instskip(NEXT) | instid1(VALU_DEP_2)
	v_cvt_u32_f32_e32 v10, v10
	v_mul_lo_u32 v16, s2, v11
	s_delay_alu instid0(VALU_DEP_2) | instskip(SKIP_1) | instid1(VALU_DEP_2)
	v_mul_hi_u32 v17, s2, v10
	v_mul_lo_u32 v18, s5, v10
	v_add_nc_u32_e32 v16, v17, v16
	v_mul_lo_u32 v17, s2, v10
	s_delay_alu instid0(VALU_DEP_2) | instskip(NEXT) | instid1(VALU_DEP_2)
	v_add_nc_u32_e32 v16, v16, v18
	v_mul_hi_u32 v18, v10, v17
	s_delay_alu instid0(VALU_DEP_2)
	v_mul_lo_u32 v19, v10, v16
	v_mul_hi_u32 v20, v10, v16
	v_mul_hi_u32 v21, v11, v17
	v_mul_lo_u32 v17, v11, v17
	v_mul_hi_u32 v22, v11, v16
	v_mul_lo_u32 v16, v11, v16
	v_add_co_u32 v18, vcc_lo, v18, v19
	v_add_co_ci_u32_e32 v19, vcc_lo, 0, v20, vcc_lo
	s_delay_alu instid0(VALU_DEP_2) | instskip(NEXT) | instid1(VALU_DEP_2)
	v_add_co_u32 v17, vcc_lo, v18, v17
	v_add_co_ci_u32_e32 v17, vcc_lo, v19, v21, vcc_lo
	v_add_co_ci_u32_e32 v18, vcc_lo, 0, v22, vcc_lo
	v_ashrrev_i32_e32 v21, 31, v15
	s_delay_alu instid0(VALU_DEP_3) | instskip(NEXT) | instid1(VALU_DEP_3)
	v_add_co_u32 v16, vcc_lo, v17, v16
	v_add_co_ci_u32_e32 v17, vcc_lo, 0, v18, vcc_lo
	s_delay_alu instid0(VALU_DEP_2) | instskip(NEXT) | instid1(VALU_DEP_2)
	v_add_co_u32 v10, vcc_lo, v10, v16
	v_add_co_ci_u32_e32 v11, vcc_lo, v11, v17, vcc_lo
	s_delay_alu instid0(VALU_DEP_2) | instskip(SKIP_1) | instid1(VALU_DEP_3)
	v_mul_hi_u32 v16, s2, v10
	v_mul_lo_u32 v18, s5, v10
	v_mul_lo_u32 v17, s2, v11
	s_delay_alu instid0(VALU_DEP_1) | instskip(SKIP_1) | instid1(VALU_DEP_2)
	v_add_nc_u32_e32 v16, v16, v17
	v_mul_lo_u32 v17, s2, v10
	v_add_nc_u32_e32 v16, v16, v18
	s_delay_alu instid0(VALU_DEP_2) | instskip(NEXT) | instid1(VALU_DEP_2)
	v_mul_hi_u32 v18, v10, v17
	v_mul_lo_u32 v19, v10, v16
	v_mul_hi_u32 v20, v10, v16
	v_mul_hi_u32 v22, v11, v17
	v_mul_lo_u32 v17, v11, v17
	v_mul_hi_u32 v23, v11, v16
	v_mul_lo_u32 v16, v11, v16
	v_add_co_u32 v18, vcc_lo, v18, v19
	v_add_co_ci_u32_e32 v19, vcc_lo, 0, v20, vcc_lo
	s_delay_alu instid0(VALU_DEP_2) | instskip(NEXT) | instid1(VALU_DEP_2)
	v_add_co_u32 v17, vcc_lo, v18, v17
	v_add_co_ci_u32_e32 v17, vcc_lo, v19, v22, vcc_lo
	v_add_co_ci_u32_e32 v18, vcc_lo, 0, v23, vcc_lo
	v_add_co_u32 v19, vcc_lo, v14, v21
	v_add_co_ci_u32_e32 v20, vcc_lo, v15, v21, vcc_lo
	s_delay_alu instid0(VALU_DEP_4) | instskip(NEXT) | instid1(VALU_DEP_4)
	v_add_co_u32 v16, vcc_lo, v17, v16
	v_add_co_ci_u32_e32 v17, vcc_lo, 0, v18, vcc_lo
	s_delay_alu instid0(VALU_DEP_4) | instskip(NEXT) | instid1(VALU_DEP_3)
	v_xor_b32_e32 v22, v19, v21
	v_add_co_u32 v18, vcc_lo, v10, v16
	s_delay_alu instid0(VALU_DEP_3) | instskip(SKIP_1) | instid1(VALU_DEP_3)
	v_add_co_ci_u32_e32 v23, vcc_lo, v11, v17, vcc_lo
	v_xor_b32_e32 v20, v20, v21
	v_mul_hi_u32 v24, v22, v18
	s_delay_alu instid0(VALU_DEP_3) | instskip(NEXT) | instid1(VALU_DEP_3)
	v_mad_u64_u32 v[10:11], null, v22, v23, 0
	v_mad_u64_u32 v[16:17], null, v20, v18, 0
	;; [unrolled: 1-line block ×3, first 2 shown]
	s_delay_alu instid0(VALU_DEP_3) | instskip(NEXT) | instid1(VALU_DEP_4)
	v_add_co_u32 v10, vcc_lo, v24, v10
	v_add_co_ci_u32_e32 v11, vcc_lo, 0, v11, vcc_lo
	s_delay_alu instid0(VALU_DEP_2) | instskip(NEXT) | instid1(VALU_DEP_2)
	v_add_co_u32 v10, vcc_lo, v10, v16
	v_add_co_ci_u32_e32 v10, vcc_lo, v11, v17, vcc_lo
	v_add_co_ci_u32_e32 v11, vcc_lo, 0, v19, vcc_lo
	s_delay_alu instid0(VALU_DEP_2) | instskip(NEXT) | instid1(VALU_DEP_2)
	v_add_co_u32 v16, vcc_lo, v10, v18
	v_add_co_ci_u32_e32 v17, vcc_lo, 0, v11, vcc_lo
	s_delay_alu instid0(VALU_DEP_2) | instskip(SKIP_1) | instid1(VALU_DEP_3)
	v_mul_lo_u32 v18, s7, v16
	v_mad_u64_u32 v[10:11], null, s6, v16, 0
	v_mul_lo_u32 v19, s6, v17
	s_delay_alu instid0(VALU_DEP_2) | instskip(NEXT) | instid1(VALU_DEP_2)
	v_sub_co_u32 v10, vcc_lo, v22, v10
	v_add3_u32 v11, v11, v19, v18
	s_delay_alu instid0(VALU_DEP_1) | instskip(NEXT) | instid1(VALU_DEP_1)
	v_sub_nc_u32_e32 v18, v20, v11
	v_subrev_co_ci_u32_e64 v18, s2, s7, v18, vcc_lo
	v_add_co_u32 v19, s2, v16, 2
	s_delay_alu instid0(VALU_DEP_1) | instskip(SKIP_3) | instid1(VALU_DEP_3)
	v_add_co_ci_u32_e64 v22, s2, 0, v17, s2
	v_sub_co_u32 v23, s2, v10, s6
	v_sub_co_ci_u32_e32 v11, vcc_lo, v20, v11, vcc_lo
	v_subrev_co_ci_u32_e64 v18, s2, 0, v18, s2
	v_cmp_le_u32_e32 vcc_lo, s6, v23
	s_delay_alu instid0(VALU_DEP_3) | instskip(SKIP_1) | instid1(VALU_DEP_4)
	v_cmp_eq_u32_e64 s2, s7, v11
	v_cndmask_b32_e64 v20, 0, -1, vcc_lo
	v_cmp_le_u32_e32 vcc_lo, s7, v18
	v_cndmask_b32_e64 v23, 0, -1, vcc_lo
	v_cmp_le_u32_e32 vcc_lo, s6, v10
	;; [unrolled: 2-line block ×3, first 2 shown]
	v_cndmask_b32_e64 v24, 0, -1, vcc_lo
	v_cmp_eq_u32_e32 vcc_lo, s7, v18
	s_delay_alu instid0(VALU_DEP_2) | instskip(SKIP_3) | instid1(VALU_DEP_3)
	v_cndmask_b32_e64 v10, v24, v10, s2
	v_cndmask_b32_e32 v18, v23, v20, vcc_lo
	v_add_co_u32 v20, vcc_lo, v16, 1
	v_add_co_ci_u32_e32 v23, vcc_lo, 0, v17, vcc_lo
	v_cmp_ne_u32_e32 vcc_lo, 0, v18
	s_delay_alu instid0(VALU_DEP_2) | instskip(SKIP_2) | instid1(VALU_DEP_3)
	v_dual_cndmask_b32 v11, v23, v22 :: v_dual_cndmask_b32 v18, v20, v19
	v_cmp_ne_u32_e32 vcc_lo, 0, v10
	v_xor_b32_e32 v19, s4, v21
	v_dual_cndmask_b32 v10, v17, v11 :: v_dual_cndmask_b32 v11, v16, v18
	s_delay_alu instid0(VALU_DEP_1) | instskip(NEXT) | instid1(VALU_DEP_2)
	v_xor_b32_e32 v16, v10, v19
	v_xor_b32_e32 v11, v11, v19
	s_delay_alu instid0(VALU_DEP_1) | instskip(NEXT) | instid1(VALU_DEP_3)
	v_sub_co_u32 v10, vcc_lo, v11, v19
	v_sub_co_ci_u32_e32 v11, vcc_lo, v16, v19, vcc_lo
.LBB21_23:
	s_and_not1_saveexec_b32 s2, s3
	s_cbranch_execz .LBB21_25
; %bb.24:
	v_cvt_f32_u32_e32 v10, s40
	s_sub_i32 s3, 0, s40
	s_delay_alu instid0(VALU_DEP_1) | instskip(SKIP_2) | instid1(VALU_DEP_1)
	v_rcp_iflag_f32_e32 v10, v10
	s_waitcnt_depctr 0xfff
	v_mul_f32_e32 v10, 0x4f7ffffe, v10
	v_cvt_u32_f32_e32 v10, v10
	s_delay_alu instid0(VALU_DEP_1) | instskip(NEXT) | instid1(VALU_DEP_1)
	v_mul_lo_u32 v11, s3, v10
	v_mul_hi_u32 v11, v10, v11
	s_delay_alu instid0(VALU_DEP_1) | instskip(NEXT) | instid1(VALU_DEP_1)
	v_add_nc_u32_e32 v10, v10, v11
	v_mul_hi_u32 v10, v14, v10
	s_delay_alu instid0(VALU_DEP_1) | instskip(SKIP_1) | instid1(VALU_DEP_2)
	v_mul_lo_u32 v11, v10, s40
	v_add_nc_u32_e32 v16, 1, v10
	v_sub_nc_u32_e32 v11, v14, v11
	s_delay_alu instid0(VALU_DEP_1) | instskip(SKIP_1) | instid1(VALU_DEP_2)
	v_subrev_nc_u32_e32 v17, s40, v11
	v_cmp_le_u32_e32 vcc_lo, s40, v11
	v_dual_cndmask_b32 v11, v11, v17 :: v_dual_cndmask_b32 v10, v10, v16
	s_delay_alu instid0(VALU_DEP_1) | instskip(NEXT) | instid1(VALU_DEP_2)
	v_cmp_le_u32_e32 vcc_lo, s40, v11
	v_dual_mov_b32 v11, 0 :: v_dual_add_nc_u32 v16, 1, v10
	s_delay_alu instid0(VALU_DEP_1)
	v_cndmask_b32_e32 v10, v10, v16, vcc_lo
.LBB21_25:
	s_or_b32 exec_lo, exec_lo, s2
	v_mul_lo_u32 v18, v7, s22
	v_mul_lo_u32 v19, v6, s23
	v_mad_u64_u32 v[16:17], null, v6, s22, 0
	v_mul_lo_u32 v7, v7, s30
	v_mul_lo_u32 v3, v3, s36
	s_delay_alu instid0(VALU_DEP_3) | instskip(NEXT) | instid1(VALU_DEP_4)
	v_add3_u32 v17, v17, v19, v18
	v_sub_co_u32 v16, vcc_lo, v12, v16
	s_delay_alu instid0(VALU_DEP_2) | instskip(NEXT) | instid1(VALU_DEP_2)
	v_sub_co_ci_u32_e32 v17, vcc_lo, v13, v17, vcc_lo
	v_mul_lo_u32 v18, v16, s29
	v_mad_u64_u32 v[12:13], null, v16, s28, s[16:17]
	s_delay_alu instid0(VALU_DEP_3) | instskip(NEXT) | instid1(VALU_DEP_1)
	v_mul_lo_u32 v16, v17, s28
	v_add3_u32 v13, v16, v13, v18
	v_mul_lo_u32 v18, v6, s31
	s_delay_alu instid0(VALU_DEP_2) | instskip(SKIP_1) | instid1(VALU_DEP_2)
	v_mad_u64_u32 v[16:17], null, v6, s30, v[12:13]
	v_mul_lo_u32 v12, v2, s37
	v_add3_u32 v17, v7, v17, v18
	s_delay_alu instid0(VALU_DEP_1) | instskip(NEXT) | instid1(VALU_DEP_1)
	v_mad_u64_u32 v[6:7], null, v2, s36, v[16:17]
	v_add3_u32 v7, v3, v7, v12
	v_mul_lo_u32 v12, v0, s39
	s_delay_alu instid0(VALU_DEP_2) | instskip(SKIP_1) | instid1(VALU_DEP_1)
	v_mad_u64_u32 v[2:3], null, v0, s38, v[6:7]
	v_mul_lo_u32 v0, v1, s38
	v_add3_u32 v3, v0, v3, v12
	global_load_u16 v0, v[2:3], off
	s_waitcnt vmcnt(0)
	v_cvt_f32_f16_e32 v1, v0
	s_delay_alu instid0(VALU_DEP_1) | instskip(NEXT) | instid1(VALU_DEP_1)
	v_and_b32_e32 v0, 0x7f800000, v1
	v_cmp_ne_u32_e32 vcc_lo, 0x7f800000, v0
                                        ; implicit-def: $vgpr0
	s_and_saveexec_b32 s2, vcc_lo
	s_delay_alu instid0(SALU_CYCLE_1)
	s_xor_b32 s2, exec_lo, s2
; %bb.26:
	v_bfe_u32 v0, v1, 16, 1
	s_delay_alu instid0(VALU_DEP_1)
	v_add3_u32 v0, v1, v0, 0x7fff
                                        ; implicit-def: $vgpr1
; %bb.27:
	s_and_not1_saveexec_b32 s2, s2
; %bb.28:
	v_and_b32_e32 v0, 0xffff, v1
	v_or_b32_e32 v2, 0x10000, v1
	s_delay_alu instid0(VALU_DEP_2) | instskip(NEXT) | instid1(VALU_DEP_2)
	v_cmp_eq_u32_e32 vcc_lo, 0, v0
	v_cndmask_b32_e32 v0, v2, v1, vcc_lo
; %bb.29:
	s_or_b32 exec_lo, exec_lo, s2
	v_mul_lo_u32 v3, v11, s40
	v_mul_lo_u32 v6, v10, s41
	v_mad_u64_u32 v[1:2], null, v10, s40, 0
	v_mul_lo_u32 v11, v11, s48
	s_load_b64 s[0:1], s[0:1], 0x80
	v_mul_lo_u32 v5, v5, s50
	s_delay_alu instid0(VALU_DEP_3) | instskip(NEXT) | instid1(VALU_DEP_4)
	v_add3_u32 v2, v2, v6, v3
	v_sub_co_u32 v3, vcc_lo, v14, v1
	s_delay_alu instid0(VALU_DEP_2) | instskip(NEXT) | instid1(VALU_DEP_2)
	v_sub_co_ci_u32_e32 v6, vcc_lo, v15, v2, vcc_lo
	v_mul_lo_u32 v7, v3, s47
	v_mad_u64_u32 v[1:2], null, v3, s46, s[18:19]
	s_delay_alu instid0(VALU_DEP_3) | instskip(NEXT) | instid1(VALU_DEP_1)
	v_mul_lo_u32 v3, v6, s46
	v_add3_u32 v2, v3, v2, v7
	v_mul_lo_u32 v3, v10, s49
	s_delay_alu instid0(VALU_DEP_2) | instskip(NEXT) | instid1(VALU_DEP_1)
	v_mad_u64_u32 v[6:7], null, v10, s48, v[1:2]
	v_add3_u32 v7, v11, v7, v3
	v_mul_lo_u32 v3, v4, s51
	s_delay_alu instid0(VALU_DEP_2) | instskip(NEXT) | instid1(VALU_DEP_1)
	v_mad_u64_u32 v[1:2], null, v4, s50, v[6:7]
	v_add3_u32 v2, v5, v2, v3
	s_waitcnt lgkmcnt(0)
	v_mul_lo_u32 v5, v8, s1
	s_delay_alu instid0(VALU_DEP_2) | instskip(SKIP_1) | instid1(VALU_DEP_1)
	v_mad_u64_u32 v[3:4], null, v8, s0, v[1:2]
	v_mul_lo_u32 v1, v9, s0
	v_add3_u32 v4, v1, v4, v5
	global_store_d16_hi_b16 v[3:4], v0, off
.LBB21_30:
	s_nop 0
	s_sendmsg sendmsg(MSG_DEALLOC_VGPRS)
	s_endpgm
	.section	.rodata,"a",@progbits
	.p2align	6, 0x0
	.amdhsa_kernel _ZL10cpy_scalarIXadL_ZL12cpy_1_scalarI6__half14__hip_bfloat16EvPKcPcEEEvS4_S5_lllllllllllllll
		.amdhsa_group_segment_fixed_size 0
		.amdhsa_private_segment_fixed_size 0
		.amdhsa_kernarg_size 392
		.amdhsa_user_sgpr_count 15
		.amdhsa_user_sgpr_dispatch_ptr 0
		.amdhsa_user_sgpr_queue_ptr 0
		.amdhsa_user_sgpr_kernarg_segment_ptr 1
		.amdhsa_user_sgpr_dispatch_id 0
		.amdhsa_user_sgpr_private_segment_size 0
		.amdhsa_wavefront_size32 1
		.amdhsa_uses_dynamic_stack 0
		.amdhsa_enable_private_segment 0
		.amdhsa_system_sgpr_workgroup_id_x 1
		.amdhsa_system_sgpr_workgroup_id_y 0
		.amdhsa_system_sgpr_workgroup_id_z 0
		.amdhsa_system_sgpr_workgroup_info 0
		.amdhsa_system_vgpr_workitem_id 0
		.amdhsa_next_free_vgpr 25
		.amdhsa_next_free_sgpr 52
		.amdhsa_reserve_vcc 1
		.amdhsa_float_round_mode_32 0
		.amdhsa_float_round_mode_16_64 0
		.amdhsa_float_denorm_mode_32 3
		.amdhsa_float_denorm_mode_16_64 3
		.amdhsa_dx10_clamp 1
		.amdhsa_ieee_mode 1
		.amdhsa_fp16_overflow 0
		.amdhsa_workgroup_processor_mode 1
		.amdhsa_memory_ordered 1
		.amdhsa_forward_progress 0
		.amdhsa_shared_vgpr_count 0
		.amdhsa_exception_fp_ieee_invalid_op 0
		.amdhsa_exception_fp_denorm_src 0
		.amdhsa_exception_fp_ieee_div_zero 0
		.amdhsa_exception_fp_ieee_overflow 0
		.amdhsa_exception_fp_ieee_underflow 0
		.amdhsa_exception_fp_ieee_inexact 0
		.amdhsa_exception_int_div_zero 0
	.end_amdhsa_kernel
	.section	.text._ZL10cpy_scalarIXadL_ZL12cpy_1_scalarI6__half14__hip_bfloat16EvPKcPcEEEvS4_S5_lllllllllllllll,"axG",@progbits,_ZL10cpy_scalarIXadL_ZL12cpy_1_scalarI6__half14__hip_bfloat16EvPKcPcEEEvS4_S5_lllllllllllllll,comdat
.Lfunc_end21:
	.size	_ZL10cpy_scalarIXadL_ZL12cpy_1_scalarI6__half14__hip_bfloat16EvPKcPcEEEvS4_S5_lllllllllllllll, .Lfunc_end21-_ZL10cpy_scalarIXadL_ZL12cpy_1_scalarI6__half14__hip_bfloat16EvPKcPcEEEvS4_S5_lllllllllllllll
                                        ; -- End function
	.section	.AMDGPU.csdata,"",@progbits
; Kernel info:
; codeLenInByte = 6924
; NumSgprs: 54
; NumVgprs: 25
; ScratchSize: 0
; MemoryBound: 0
; FloatMode: 240
; IeeeMode: 1
; LDSByteSize: 0 bytes/workgroup (compile time only)
; SGPRBlocks: 6
; VGPRBlocks: 3
; NumSGPRsForWavesPerEU: 54
; NumVGPRsForWavesPerEU: 25
; Occupancy: 16
; WaveLimiterHint : 0
; COMPUTE_PGM_RSRC2:SCRATCH_EN: 0
; COMPUTE_PGM_RSRC2:USER_SGPR: 15
; COMPUTE_PGM_RSRC2:TRAP_HANDLER: 0
; COMPUTE_PGM_RSRC2:TGID_X_EN: 1
; COMPUTE_PGM_RSRC2:TGID_Y_EN: 0
; COMPUTE_PGM_RSRC2:TGID_Z_EN: 0
; COMPUTE_PGM_RSRC2:TIDIG_COMP_CNT: 0
	.section	.text._ZL21cpy_scalar_contiguousI6__halffEvPKcPcl,"axG",@progbits,_ZL21cpy_scalar_contiguousI6__halffEvPKcPcl,comdat
	.globl	_ZL21cpy_scalar_contiguousI6__halffEvPKcPcl ; -- Begin function _ZL21cpy_scalar_contiguousI6__halffEvPKcPcl
	.p2align	8
	.type	_ZL21cpy_scalar_contiguousI6__halffEvPKcPcl,@function
_ZL21cpy_scalar_contiguousI6__halffEvPKcPcl: ; @_ZL21cpy_scalar_contiguousI6__halffEvPKcPcl
; %bb.0:
	s_clause 0x1
	s_load_b32 s4, s[0:1], 0x24
	s_load_b64 s[2:3], s[0:1], 0x10
	v_mov_b32_e32 v1, 0
	s_waitcnt lgkmcnt(0)
	s_and_b32 s4, s4, 0xffff
	s_delay_alu instid0(VALU_DEP_1) | instid1(SALU_CYCLE_1)
	v_mad_u64_u32 v[2:3], null, s4, s15, v[0:1]
	s_delay_alu instid0(VALU_DEP_1)
	v_cmp_gt_i64_e32 vcc_lo, s[2:3], v[2:3]
	s_and_saveexec_b32 s2, vcc_lo
	s_cbranch_execz .LBB22_2
; %bb.1:
	s_load_b128 s[0:3], s[0:1], 0x0
	v_lshlrev_b64 v[0:1], 1, v[2:3]
	s_waitcnt lgkmcnt(0)
	s_delay_alu instid0(VALU_DEP_1) | instskip(NEXT) | instid1(VALU_DEP_2)
	v_add_co_u32 v0, vcc_lo, s0, v0
	v_add_co_ci_u32_e32 v1, vcc_lo, s1, v1, vcc_lo
	global_load_u16 v4, v[0:1], off
	v_lshlrev_b64 v[0:1], 2, v[2:3]
	s_delay_alu instid0(VALU_DEP_1) | instskip(NEXT) | instid1(VALU_DEP_2)
	v_add_co_u32 v0, vcc_lo, s2, v0
	v_add_co_ci_u32_e32 v1, vcc_lo, s3, v1, vcc_lo
	s_waitcnt vmcnt(0)
	v_cvt_f32_f16_e32 v2, v4
	global_store_b32 v[0:1], v2, off
.LBB22_2:
	s_nop 0
	s_sendmsg sendmsg(MSG_DEALLOC_VGPRS)
	s_endpgm
	.section	.rodata,"a",@progbits
	.p2align	6, 0x0
	.amdhsa_kernel _ZL21cpy_scalar_contiguousI6__halffEvPKcPcl
		.amdhsa_group_segment_fixed_size 0
		.amdhsa_private_segment_fixed_size 0
		.amdhsa_kernarg_size 280
		.amdhsa_user_sgpr_count 15
		.amdhsa_user_sgpr_dispatch_ptr 0
		.amdhsa_user_sgpr_queue_ptr 0
		.amdhsa_user_sgpr_kernarg_segment_ptr 1
		.amdhsa_user_sgpr_dispatch_id 0
		.amdhsa_user_sgpr_private_segment_size 0
		.amdhsa_wavefront_size32 1
		.amdhsa_uses_dynamic_stack 0
		.amdhsa_enable_private_segment 0
		.amdhsa_system_sgpr_workgroup_id_x 1
		.amdhsa_system_sgpr_workgroup_id_y 0
		.amdhsa_system_sgpr_workgroup_id_z 0
		.amdhsa_system_sgpr_workgroup_info 0
		.amdhsa_system_vgpr_workitem_id 0
		.amdhsa_next_free_vgpr 5
		.amdhsa_next_free_sgpr 16
		.amdhsa_reserve_vcc 1
		.amdhsa_float_round_mode_32 0
		.amdhsa_float_round_mode_16_64 0
		.amdhsa_float_denorm_mode_32 3
		.amdhsa_float_denorm_mode_16_64 3
		.amdhsa_dx10_clamp 1
		.amdhsa_ieee_mode 1
		.amdhsa_fp16_overflow 0
		.amdhsa_workgroup_processor_mode 1
		.amdhsa_memory_ordered 1
		.amdhsa_forward_progress 0
		.amdhsa_shared_vgpr_count 0
		.amdhsa_exception_fp_ieee_invalid_op 0
		.amdhsa_exception_fp_denorm_src 0
		.amdhsa_exception_fp_ieee_div_zero 0
		.amdhsa_exception_fp_ieee_overflow 0
		.amdhsa_exception_fp_ieee_underflow 0
		.amdhsa_exception_fp_ieee_inexact 0
		.amdhsa_exception_int_div_zero 0
	.end_amdhsa_kernel
	.section	.text._ZL21cpy_scalar_contiguousI6__halffEvPKcPcl,"axG",@progbits,_ZL21cpy_scalar_contiguousI6__halffEvPKcPcl,comdat
.Lfunc_end22:
	.size	_ZL21cpy_scalar_contiguousI6__halffEvPKcPcl, .Lfunc_end22-_ZL21cpy_scalar_contiguousI6__halffEvPKcPcl
                                        ; -- End function
	.section	.AMDGPU.csdata,"",@progbits
; Kernel info:
; codeLenInByte = 160
; NumSgprs: 18
; NumVgprs: 5
; ScratchSize: 0
; MemoryBound: 0
; FloatMode: 240
; IeeeMode: 1
; LDSByteSize: 0 bytes/workgroup (compile time only)
; SGPRBlocks: 2
; VGPRBlocks: 0
; NumSGPRsForWavesPerEU: 18
; NumVGPRsForWavesPerEU: 5
; Occupancy: 16
; WaveLimiterHint : 0
; COMPUTE_PGM_RSRC2:SCRATCH_EN: 0
; COMPUTE_PGM_RSRC2:USER_SGPR: 15
; COMPUTE_PGM_RSRC2:TRAP_HANDLER: 0
; COMPUTE_PGM_RSRC2:TGID_X_EN: 1
; COMPUTE_PGM_RSRC2:TGID_Y_EN: 0
; COMPUTE_PGM_RSRC2:TGID_Z_EN: 0
; COMPUTE_PGM_RSRC2:TIDIG_COMP_CNT: 0
	.section	.text._ZL10cpy_scalarIXadL_ZL12cpy_1_scalarI6__halffEvPKcPcEEEvS3_S4_lllllllllllllll,"axG",@progbits,_ZL10cpy_scalarIXadL_ZL12cpy_1_scalarI6__halffEvPKcPcEEEvS3_S4_lllllllllllllll,comdat
	.globl	_ZL10cpy_scalarIXadL_ZL12cpy_1_scalarI6__halffEvPKcPcEEEvS3_S4_lllllllllllllll ; -- Begin function _ZL10cpy_scalarIXadL_ZL12cpy_1_scalarI6__halffEvPKcPcEEEvS3_S4_lllllllllllllll
	.p2align	8
	.type	_ZL10cpy_scalarIXadL_ZL12cpy_1_scalarI6__halffEvPKcPcEEEvS3_S4_lllllllllllllll,@function
_ZL10cpy_scalarIXadL_ZL12cpy_1_scalarI6__halffEvPKcPcEEEvS3_S4_lllllllllllllll: ; @_ZL10cpy_scalarIXadL_ZL12cpy_1_scalarI6__halffEvPKcPcEEEvS3_S4_lllllllllllllll
; %bb.0:
	s_clause 0x1
	s_load_b32 s2, s[0:1], 0x94
	s_load_b512 s[16:31], s[0:1], 0x0
	v_mov_b32_e32 v2, 0
	s_delay_alu instid0(VALU_DEP_1)
	v_mov_b32_e32 v1, v2
	s_waitcnt lgkmcnt(0)
	s_and_b32 s2, s2, 0xffff
	s_delay_alu instid0(VALU_DEP_1) | instid1(SALU_CYCLE_1)
	v_mad_u64_u32 v[4:5], null, s2, s15, v[0:1]
	s_mov_b32 s2, exec_lo
	s_delay_alu instid0(VALU_DEP_1)
	v_cmpx_gt_i64_e64 s[20:21], v[4:5]
	s_cbranch_execz .LBB23_26
; %bb.1:
	s_mul_i32 s2, s24, s23
	s_mul_hi_u32 s3, s24, s22
	v_ashrrev_i32_e32 v10, 31, v5
	s_add_i32 s8, s3, s2
	s_mul_i32 s3, s24, s22
	s_mul_i32 s2, s25, s22
	;; [unrolled: 1-line block ×3, first 2 shown]
	s_mul_hi_u32 s5, s3, s26
	s_add_i32 s8, s8, s2
	s_add_i32 s2, s5, s4
	s_mul_i32 s4, s8, s26
	s_mul_i32 s10, s3, s26
	s_add_i32 s9, s2, s4
                                        ; implicit-def: $vgpr0_vgpr1
	s_mov_b32 s2, exec_lo
	v_or_b32_e32 v3, s9, v5
	s_delay_alu instid0(VALU_DEP_1)
	v_cmpx_ne_u64_e32 0, v[2:3]
	s_xor_b32 s11, exec_lo, s2
	s_cbranch_execz .LBB23_3
; %bb.2:
	s_ashr_i32 s4, s9, 31
	s_delay_alu instid0(SALU_CYCLE_1) | instskip(SKIP_2) | instid1(SALU_CYCLE_1)
	s_add_u32 s6, s10, s4
	s_mov_b32 s5, s4
	s_addc_u32 s7, s9, s4
	s_xor_b64 s[6:7], s[6:7], s[4:5]
	s_delay_alu instid0(SALU_CYCLE_1) | instskip(SKIP_3) | instid1(VALU_DEP_1)
	v_cvt_f32_u32_e32 v0, s6
	v_cvt_f32_u32_e32 v1, s7
	s_sub_u32 s2, 0, s6
	s_subb_u32 s5, 0, s7
	v_fmamk_f32 v0, v1, 0x4f800000, v0
	s_delay_alu instid0(VALU_DEP_1) | instskip(SKIP_2) | instid1(VALU_DEP_1)
	v_rcp_f32_e32 v0, v0
	s_waitcnt_depctr 0xfff
	v_mul_f32_e32 v0, 0x5f7ffffc, v0
	v_mul_f32_e32 v1, 0x2f800000, v0
	s_delay_alu instid0(VALU_DEP_1) | instskip(NEXT) | instid1(VALU_DEP_1)
	v_trunc_f32_e32 v1, v1
	v_fmamk_f32 v0, v1, 0xcf800000, v0
	v_cvt_u32_f32_e32 v1, v1
	s_delay_alu instid0(VALU_DEP_2) | instskip(NEXT) | instid1(VALU_DEP_2)
	v_cvt_u32_f32_e32 v0, v0
	v_mul_lo_u32 v2, s2, v1
	s_delay_alu instid0(VALU_DEP_2) | instskip(SKIP_1) | instid1(VALU_DEP_2)
	v_mul_hi_u32 v3, s2, v0
	v_mul_lo_u32 v6, s5, v0
	v_add_nc_u32_e32 v2, v3, v2
	v_mul_lo_u32 v3, s2, v0
	s_delay_alu instid0(VALU_DEP_2) | instskip(NEXT) | instid1(VALU_DEP_2)
	v_add_nc_u32_e32 v2, v2, v6
	v_mul_hi_u32 v6, v0, v3
	s_delay_alu instid0(VALU_DEP_2)
	v_mul_lo_u32 v7, v0, v2
	v_mul_hi_u32 v8, v0, v2
	v_mul_hi_u32 v9, v1, v3
	v_mul_lo_u32 v3, v1, v3
	v_mul_hi_u32 v11, v1, v2
	v_mul_lo_u32 v2, v1, v2
	v_add_co_u32 v6, vcc_lo, v6, v7
	v_add_co_ci_u32_e32 v7, vcc_lo, 0, v8, vcc_lo
	s_delay_alu instid0(VALU_DEP_2) | instskip(NEXT) | instid1(VALU_DEP_2)
	v_add_co_u32 v3, vcc_lo, v6, v3
	v_add_co_ci_u32_e32 v3, vcc_lo, v7, v9, vcc_lo
	v_add_co_ci_u32_e32 v6, vcc_lo, 0, v11, vcc_lo
	s_delay_alu instid0(VALU_DEP_2) | instskip(NEXT) | instid1(VALU_DEP_2)
	v_add_co_u32 v2, vcc_lo, v3, v2
	v_add_co_ci_u32_e32 v3, vcc_lo, 0, v6, vcc_lo
	s_delay_alu instid0(VALU_DEP_2) | instskip(NEXT) | instid1(VALU_DEP_2)
	v_add_co_u32 v0, vcc_lo, v0, v2
	v_add_co_ci_u32_e32 v1, vcc_lo, v1, v3, vcc_lo
	s_delay_alu instid0(VALU_DEP_2) | instskip(SKIP_1) | instid1(VALU_DEP_3)
	v_mul_hi_u32 v2, s2, v0
	v_mul_lo_u32 v6, s5, v0
	v_mul_lo_u32 v3, s2, v1
	s_delay_alu instid0(VALU_DEP_1) | instskip(SKIP_1) | instid1(VALU_DEP_2)
	v_add_nc_u32_e32 v2, v2, v3
	v_mul_lo_u32 v3, s2, v0
	v_add_nc_u32_e32 v2, v2, v6
	s_delay_alu instid0(VALU_DEP_2) | instskip(NEXT) | instid1(VALU_DEP_2)
	v_mul_hi_u32 v6, v0, v3
	v_mul_lo_u32 v7, v0, v2
	v_mul_hi_u32 v8, v0, v2
	v_mul_hi_u32 v9, v1, v3
	v_mul_lo_u32 v3, v1, v3
	v_mul_hi_u32 v11, v1, v2
	v_mul_lo_u32 v2, v1, v2
	v_add_co_u32 v6, vcc_lo, v6, v7
	v_add_co_ci_u32_e32 v7, vcc_lo, 0, v8, vcc_lo
	s_delay_alu instid0(VALU_DEP_2) | instskip(NEXT) | instid1(VALU_DEP_2)
	v_add_co_u32 v3, vcc_lo, v6, v3
	v_add_co_ci_u32_e32 v3, vcc_lo, v7, v9, vcc_lo
	v_add_co_ci_u32_e32 v6, vcc_lo, 0, v11, vcc_lo
	v_add_co_u32 v7, vcc_lo, v4, v10
	v_add_co_ci_u32_e32 v8, vcc_lo, v5, v10, vcc_lo
	s_delay_alu instid0(VALU_DEP_4) | instskip(NEXT) | instid1(VALU_DEP_4)
	v_add_co_u32 v2, vcc_lo, v3, v2
	v_add_co_ci_u32_e32 v3, vcc_lo, 0, v6, vcc_lo
	s_delay_alu instid0(VALU_DEP_4) | instskip(NEXT) | instid1(VALU_DEP_3)
	v_xor_b32_e32 v9, v7, v10
	v_add_co_u32 v6, vcc_lo, v0, v2
	s_delay_alu instid0(VALU_DEP_3) | instskip(SKIP_1) | instid1(VALU_DEP_3)
	v_add_co_ci_u32_e32 v11, vcc_lo, v1, v3, vcc_lo
	v_xor_b32_e32 v8, v8, v10
	v_mul_hi_u32 v12, v9, v6
	s_delay_alu instid0(VALU_DEP_3) | instskip(NEXT) | instid1(VALU_DEP_3)
	v_mad_u64_u32 v[0:1], null, v9, v11, 0
	v_mad_u64_u32 v[2:3], null, v8, v6, 0
	;; [unrolled: 1-line block ×3, first 2 shown]
	s_delay_alu instid0(VALU_DEP_3) | instskip(NEXT) | instid1(VALU_DEP_4)
	v_add_co_u32 v0, vcc_lo, v12, v0
	v_add_co_ci_u32_e32 v1, vcc_lo, 0, v1, vcc_lo
	s_delay_alu instid0(VALU_DEP_2) | instskip(NEXT) | instid1(VALU_DEP_2)
	v_add_co_u32 v0, vcc_lo, v0, v2
	v_add_co_ci_u32_e32 v0, vcc_lo, v1, v3, vcc_lo
	v_add_co_ci_u32_e32 v1, vcc_lo, 0, v7, vcc_lo
	s_delay_alu instid0(VALU_DEP_2) | instskip(NEXT) | instid1(VALU_DEP_2)
	v_add_co_u32 v2, vcc_lo, v0, v6
	v_add_co_ci_u32_e32 v3, vcc_lo, 0, v1, vcc_lo
	s_delay_alu instid0(VALU_DEP_2) | instskip(SKIP_1) | instid1(VALU_DEP_3)
	v_mul_lo_u32 v6, s7, v2
	v_mad_u64_u32 v[0:1], null, s6, v2, 0
	v_mul_lo_u32 v7, s6, v3
	s_delay_alu instid0(VALU_DEP_2) | instskip(NEXT) | instid1(VALU_DEP_2)
	v_sub_co_u32 v0, vcc_lo, v9, v0
	v_add3_u32 v1, v1, v7, v6
	s_delay_alu instid0(VALU_DEP_1) | instskip(NEXT) | instid1(VALU_DEP_1)
	v_sub_nc_u32_e32 v6, v8, v1
	v_subrev_co_ci_u32_e64 v6, s2, s7, v6, vcc_lo
	v_add_co_u32 v7, s2, v2, 2
	s_delay_alu instid0(VALU_DEP_1) | instskip(SKIP_3) | instid1(VALU_DEP_3)
	v_add_co_ci_u32_e64 v9, s2, 0, v3, s2
	v_sub_co_u32 v11, s2, v0, s6
	v_sub_co_ci_u32_e32 v1, vcc_lo, v8, v1, vcc_lo
	v_subrev_co_ci_u32_e64 v6, s2, 0, v6, s2
	v_cmp_le_u32_e32 vcc_lo, s6, v11
	s_delay_alu instid0(VALU_DEP_3) | instskip(SKIP_1) | instid1(VALU_DEP_4)
	v_cmp_eq_u32_e64 s2, s7, v1
	v_cndmask_b32_e64 v8, 0, -1, vcc_lo
	v_cmp_le_u32_e32 vcc_lo, s7, v6
	v_cndmask_b32_e64 v11, 0, -1, vcc_lo
	v_cmp_le_u32_e32 vcc_lo, s6, v0
	;; [unrolled: 2-line block ×3, first 2 shown]
	v_cndmask_b32_e64 v12, 0, -1, vcc_lo
	v_cmp_eq_u32_e32 vcc_lo, s7, v6
	s_delay_alu instid0(VALU_DEP_2) | instskip(SKIP_3) | instid1(VALU_DEP_3)
	v_cndmask_b32_e64 v0, v12, v0, s2
	v_cndmask_b32_e32 v6, v11, v8, vcc_lo
	v_add_co_u32 v8, vcc_lo, v2, 1
	v_add_co_ci_u32_e32 v11, vcc_lo, 0, v3, vcc_lo
	v_cmp_ne_u32_e32 vcc_lo, 0, v6
	s_delay_alu instid0(VALU_DEP_2) | instskip(SKIP_2) | instid1(VALU_DEP_3)
	v_dual_cndmask_b32 v1, v11, v9 :: v_dual_cndmask_b32 v6, v8, v7
	v_cmp_ne_u32_e32 vcc_lo, 0, v0
	v_xor_b32_e32 v7, s4, v10
	v_dual_cndmask_b32 v0, v3, v1 :: v_dual_cndmask_b32 v1, v2, v6
	s_delay_alu instid0(VALU_DEP_1) | instskip(NEXT) | instid1(VALU_DEP_2)
	v_xor_b32_e32 v2, v0, v7
	v_xor_b32_e32 v1, v1, v7
	s_delay_alu instid0(VALU_DEP_1) | instskip(NEXT) | instid1(VALU_DEP_3)
	v_sub_co_u32 v0, vcc_lo, v1, v7
	v_sub_co_ci_u32_e32 v1, vcc_lo, v2, v7, vcc_lo
.LBB23_3:
	s_and_not1_saveexec_b32 s2, s11
	s_cbranch_execz .LBB23_5
; %bb.4:
	v_cvt_f32_u32_e32 v0, s10
	s_sub_i32 s4, 0, s10
	s_delay_alu instid0(VALU_DEP_1) | instskip(SKIP_2) | instid1(VALU_DEP_1)
	v_rcp_iflag_f32_e32 v0, v0
	s_waitcnt_depctr 0xfff
	v_mul_f32_e32 v0, 0x4f7ffffe, v0
	v_cvt_u32_f32_e32 v0, v0
	s_delay_alu instid0(VALU_DEP_1) | instskip(NEXT) | instid1(VALU_DEP_1)
	v_mul_lo_u32 v1, s4, v0
	v_mul_hi_u32 v1, v0, v1
	s_delay_alu instid0(VALU_DEP_1) | instskip(NEXT) | instid1(VALU_DEP_1)
	v_add_nc_u32_e32 v0, v0, v1
	v_mul_hi_u32 v0, v4, v0
	s_delay_alu instid0(VALU_DEP_1) | instskip(SKIP_1) | instid1(VALU_DEP_2)
	v_mul_lo_u32 v1, v0, s10
	v_add_nc_u32_e32 v2, 1, v0
	v_sub_nc_u32_e32 v1, v4, v1
	s_delay_alu instid0(VALU_DEP_1) | instskip(SKIP_1) | instid1(VALU_DEP_2)
	v_subrev_nc_u32_e32 v3, s10, v1
	v_cmp_le_u32_e32 vcc_lo, s10, v1
	v_dual_cndmask_b32 v1, v1, v3 :: v_dual_cndmask_b32 v0, v0, v2
	s_delay_alu instid0(VALU_DEP_1) | instskip(NEXT) | instid1(VALU_DEP_2)
	v_cmp_le_u32_e32 vcc_lo, s10, v1
	v_dual_mov_b32 v1, 0 :: v_dual_add_nc_u32 v2, 1, v0
	s_delay_alu instid0(VALU_DEP_1)
	v_cndmask_b32_e32 v0, v0, v2, vcc_lo
.LBB23_5:
	s_or_b32 exec_lo, exec_lo, s2
	s_delay_alu instid0(VALU_DEP_1) | instskip(NEXT) | instid1(VALU_DEP_2)
	v_mul_lo_u32 v6, s9, v0
	v_mul_lo_u32 v7, s10, v1
	v_mad_u64_u32 v[2:3], null, s10, v0, 0
	s_delay_alu instid0(VALU_DEP_1) | instskip(NEXT) | instid1(VALU_DEP_2)
	v_add3_u32 v3, v3, v7, v6
	v_sub_co_u32 v6, vcc_lo, v4, v2
	v_mov_b32_e32 v2, 0
	s_delay_alu instid0(VALU_DEP_3) | instskip(NEXT) | instid1(VALU_DEP_1)
	v_sub_co_ci_u32_e32 v7, vcc_lo, v5, v3, vcc_lo
	v_or_b32_e32 v3, s8, v7
	s_delay_alu instid0(VALU_DEP_1) | instskip(SKIP_1) | instid1(SALU_CYCLE_1)
	v_cmp_ne_u64_e32 vcc_lo, 0, v[2:3]
                                        ; implicit-def: $vgpr2_vgpr3
	s_and_saveexec_b32 s2, vcc_lo
	s_xor_b32 s9, exec_lo, s2
	s_cbranch_execz .LBB23_7
; %bb.6:
	s_ashr_i32 s4, s8, 31
	s_delay_alu instid0(SALU_CYCLE_1) | instskip(SKIP_2) | instid1(SALU_CYCLE_1)
	s_add_u32 s6, s3, s4
	s_mov_b32 s5, s4
	s_addc_u32 s7, s8, s4
	s_xor_b64 s[6:7], s[6:7], s[4:5]
	s_delay_alu instid0(SALU_CYCLE_1) | instskip(SKIP_3) | instid1(VALU_DEP_1)
	v_cvt_f32_u32_e32 v2, s6
	v_cvt_f32_u32_e32 v3, s7
	s_sub_u32 s2, 0, s6
	s_subb_u32 s5, 0, s7
	v_fmamk_f32 v2, v3, 0x4f800000, v2
	s_delay_alu instid0(VALU_DEP_1) | instskip(SKIP_2) | instid1(VALU_DEP_1)
	v_rcp_f32_e32 v2, v2
	s_waitcnt_depctr 0xfff
	v_mul_f32_e32 v2, 0x5f7ffffc, v2
	v_mul_f32_e32 v3, 0x2f800000, v2
	s_delay_alu instid0(VALU_DEP_1) | instskip(NEXT) | instid1(VALU_DEP_1)
	v_trunc_f32_e32 v3, v3
	v_fmamk_f32 v2, v3, 0xcf800000, v2
	v_cvt_u32_f32_e32 v3, v3
	s_delay_alu instid0(VALU_DEP_2) | instskip(NEXT) | instid1(VALU_DEP_2)
	v_cvt_u32_f32_e32 v2, v2
	v_mul_lo_u32 v8, s2, v3
	s_delay_alu instid0(VALU_DEP_2) | instskip(SKIP_1) | instid1(VALU_DEP_2)
	v_mul_hi_u32 v9, s2, v2
	v_mul_lo_u32 v11, s5, v2
	v_add_nc_u32_e32 v8, v9, v8
	v_mul_lo_u32 v9, s2, v2
	s_delay_alu instid0(VALU_DEP_2) | instskip(NEXT) | instid1(VALU_DEP_2)
	v_add_nc_u32_e32 v8, v8, v11
	v_mul_hi_u32 v11, v2, v9
	s_delay_alu instid0(VALU_DEP_2)
	v_mul_lo_u32 v12, v2, v8
	v_mul_hi_u32 v13, v2, v8
	v_mul_hi_u32 v14, v3, v9
	v_mul_lo_u32 v9, v3, v9
	v_mul_hi_u32 v15, v3, v8
	v_mul_lo_u32 v8, v3, v8
	v_add_co_u32 v11, vcc_lo, v11, v12
	v_add_co_ci_u32_e32 v12, vcc_lo, 0, v13, vcc_lo
	s_delay_alu instid0(VALU_DEP_2) | instskip(NEXT) | instid1(VALU_DEP_2)
	v_add_co_u32 v9, vcc_lo, v11, v9
	v_add_co_ci_u32_e32 v9, vcc_lo, v12, v14, vcc_lo
	v_add_co_ci_u32_e32 v11, vcc_lo, 0, v15, vcc_lo
	v_ashrrev_i32_e32 v14, 31, v7
	s_delay_alu instid0(VALU_DEP_3) | instskip(NEXT) | instid1(VALU_DEP_3)
	v_add_co_u32 v8, vcc_lo, v9, v8
	v_add_co_ci_u32_e32 v9, vcc_lo, 0, v11, vcc_lo
	s_delay_alu instid0(VALU_DEP_2) | instskip(NEXT) | instid1(VALU_DEP_2)
	v_add_co_u32 v2, vcc_lo, v2, v8
	v_add_co_ci_u32_e32 v3, vcc_lo, v3, v9, vcc_lo
	s_delay_alu instid0(VALU_DEP_2) | instskip(SKIP_1) | instid1(VALU_DEP_3)
	v_mul_hi_u32 v8, s2, v2
	v_mul_lo_u32 v11, s5, v2
	v_mul_lo_u32 v9, s2, v3
	s_delay_alu instid0(VALU_DEP_1) | instskip(SKIP_1) | instid1(VALU_DEP_2)
	v_add_nc_u32_e32 v8, v8, v9
	v_mul_lo_u32 v9, s2, v2
	v_add_nc_u32_e32 v8, v8, v11
	s_delay_alu instid0(VALU_DEP_2) | instskip(NEXT) | instid1(VALU_DEP_2)
	v_mul_hi_u32 v11, v2, v9
	v_mul_lo_u32 v12, v2, v8
	v_mul_hi_u32 v13, v2, v8
	v_mul_hi_u32 v15, v3, v9
	v_mul_lo_u32 v9, v3, v9
	v_mul_hi_u32 v16, v3, v8
	v_mul_lo_u32 v8, v3, v8
	v_add_co_u32 v11, vcc_lo, v11, v12
	v_add_co_ci_u32_e32 v12, vcc_lo, 0, v13, vcc_lo
	s_delay_alu instid0(VALU_DEP_2) | instskip(NEXT) | instid1(VALU_DEP_2)
	v_add_co_u32 v9, vcc_lo, v11, v9
	v_add_co_ci_u32_e32 v9, vcc_lo, v12, v15, vcc_lo
	v_add_co_ci_u32_e32 v11, vcc_lo, 0, v16, vcc_lo
	v_add_co_u32 v12, vcc_lo, v6, v14
	v_add_co_ci_u32_e32 v13, vcc_lo, v7, v14, vcc_lo
	s_delay_alu instid0(VALU_DEP_4) | instskip(NEXT) | instid1(VALU_DEP_4)
	v_add_co_u32 v8, vcc_lo, v9, v8
	v_add_co_ci_u32_e32 v9, vcc_lo, 0, v11, vcc_lo
	s_delay_alu instid0(VALU_DEP_4) | instskip(NEXT) | instid1(VALU_DEP_3)
	v_xor_b32_e32 v15, v12, v14
	v_add_co_u32 v11, vcc_lo, v2, v8
	s_delay_alu instid0(VALU_DEP_3) | instskip(SKIP_1) | instid1(VALU_DEP_3)
	v_add_co_ci_u32_e32 v16, vcc_lo, v3, v9, vcc_lo
	v_xor_b32_e32 v13, v13, v14
	v_mul_hi_u32 v17, v15, v11
	s_delay_alu instid0(VALU_DEP_3) | instskip(NEXT) | instid1(VALU_DEP_3)
	v_mad_u64_u32 v[2:3], null, v15, v16, 0
	v_mad_u64_u32 v[8:9], null, v13, v11, 0
	;; [unrolled: 1-line block ×3, first 2 shown]
	s_delay_alu instid0(VALU_DEP_3) | instskip(NEXT) | instid1(VALU_DEP_4)
	v_add_co_u32 v2, vcc_lo, v17, v2
	v_add_co_ci_u32_e32 v3, vcc_lo, 0, v3, vcc_lo
	s_delay_alu instid0(VALU_DEP_2) | instskip(NEXT) | instid1(VALU_DEP_2)
	v_add_co_u32 v2, vcc_lo, v2, v8
	v_add_co_ci_u32_e32 v2, vcc_lo, v3, v9, vcc_lo
	v_add_co_ci_u32_e32 v3, vcc_lo, 0, v12, vcc_lo
	s_delay_alu instid0(VALU_DEP_2) | instskip(NEXT) | instid1(VALU_DEP_2)
	v_add_co_u32 v8, vcc_lo, v2, v11
	v_add_co_ci_u32_e32 v9, vcc_lo, 0, v3, vcc_lo
	s_delay_alu instid0(VALU_DEP_2) | instskip(SKIP_1) | instid1(VALU_DEP_3)
	v_mul_lo_u32 v11, s7, v8
	v_mad_u64_u32 v[2:3], null, s6, v8, 0
	v_mul_lo_u32 v12, s6, v9
	s_delay_alu instid0(VALU_DEP_2) | instskip(NEXT) | instid1(VALU_DEP_2)
	v_sub_co_u32 v2, vcc_lo, v15, v2
	v_add3_u32 v3, v3, v12, v11
	s_delay_alu instid0(VALU_DEP_1) | instskip(NEXT) | instid1(VALU_DEP_1)
	v_sub_nc_u32_e32 v11, v13, v3
	v_subrev_co_ci_u32_e64 v11, s2, s7, v11, vcc_lo
	v_add_co_u32 v12, s2, v8, 2
	s_delay_alu instid0(VALU_DEP_1) | instskip(SKIP_3) | instid1(VALU_DEP_3)
	v_add_co_ci_u32_e64 v15, s2, 0, v9, s2
	v_sub_co_u32 v16, s2, v2, s6
	v_sub_co_ci_u32_e32 v3, vcc_lo, v13, v3, vcc_lo
	v_subrev_co_ci_u32_e64 v11, s2, 0, v11, s2
	v_cmp_le_u32_e32 vcc_lo, s6, v16
	s_delay_alu instid0(VALU_DEP_3) | instskip(SKIP_1) | instid1(VALU_DEP_4)
	v_cmp_eq_u32_e64 s2, s7, v3
	v_cndmask_b32_e64 v13, 0, -1, vcc_lo
	v_cmp_le_u32_e32 vcc_lo, s7, v11
	v_cndmask_b32_e64 v16, 0, -1, vcc_lo
	v_cmp_le_u32_e32 vcc_lo, s6, v2
	;; [unrolled: 2-line block ×3, first 2 shown]
	v_cndmask_b32_e64 v17, 0, -1, vcc_lo
	v_cmp_eq_u32_e32 vcc_lo, s7, v11
	s_delay_alu instid0(VALU_DEP_2) | instskip(SKIP_3) | instid1(VALU_DEP_3)
	v_cndmask_b32_e64 v2, v17, v2, s2
	v_cndmask_b32_e32 v11, v16, v13, vcc_lo
	v_add_co_u32 v13, vcc_lo, v8, 1
	v_add_co_ci_u32_e32 v16, vcc_lo, 0, v9, vcc_lo
	v_cmp_ne_u32_e32 vcc_lo, 0, v11
	s_delay_alu instid0(VALU_DEP_3) | instskip(NEXT) | instid1(VALU_DEP_3)
	v_cndmask_b32_e32 v11, v13, v12, vcc_lo
	v_cndmask_b32_e32 v3, v16, v15, vcc_lo
	v_cmp_ne_u32_e32 vcc_lo, 0, v2
	v_xor_b32_e32 v12, s4, v14
	s_delay_alu instid0(VALU_DEP_3) | instskip(SKIP_1) | instid1(VALU_DEP_2)
	v_cndmask_b32_e32 v2, v9, v3, vcc_lo
	v_cndmask_b32_e32 v3, v8, v11, vcc_lo
	v_xor_b32_e32 v8, v2, v12
	s_delay_alu instid0(VALU_DEP_2) | instskip(NEXT) | instid1(VALU_DEP_1)
	v_xor_b32_e32 v3, v3, v12
	v_sub_co_u32 v2, vcc_lo, v3, v12
	s_delay_alu instid0(VALU_DEP_3)
	v_sub_co_ci_u32_e32 v3, vcc_lo, v8, v12, vcc_lo
.LBB23_7:
	s_and_not1_saveexec_b32 s2, s9
	s_cbranch_execz .LBB23_9
; %bb.8:
	v_cvt_f32_u32_e32 v2, s3
	s_sub_i32 s4, 0, s3
	s_delay_alu instid0(VALU_DEP_1) | instskip(SKIP_2) | instid1(VALU_DEP_1)
	v_rcp_iflag_f32_e32 v2, v2
	s_waitcnt_depctr 0xfff
	v_mul_f32_e32 v2, 0x4f7ffffe, v2
	v_cvt_u32_f32_e32 v2, v2
	s_delay_alu instid0(VALU_DEP_1) | instskip(NEXT) | instid1(VALU_DEP_1)
	v_mul_lo_u32 v3, s4, v2
	v_mul_hi_u32 v3, v2, v3
	s_delay_alu instid0(VALU_DEP_1) | instskip(NEXT) | instid1(VALU_DEP_1)
	v_add_nc_u32_e32 v2, v2, v3
	v_mul_hi_u32 v2, v6, v2
	s_delay_alu instid0(VALU_DEP_1) | instskip(SKIP_1) | instid1(VALU_DEP_2)
	v_mul_lo_u32 v3, v2, s3
	v_add_nc_u32_e32 v8, 1, v2
	v_sub_nc_u32_e32 v3, v6, v3
	s_delay_alu instid0(VALU_DEP_1) | instskip(SKIP_1) | instid1(VALU_DEP_2)
	v_subrev_nc_u32_e32 v9, s3, v3
	v_cmp_le_u32_e32 vcc_lo, s3, v3
	v_dual_cndmask_b32 v3, v3, v9 :: v_dual_cndmask_b32 v2, v2, v8
	s_delay_alu instid0(VALU_DEP_1) | instskip(NEXT) | instid1(VALU_DEP_2)
	v_cmp_le_u32_e32 vcc_lo, s3, v3
	v_dual_mov_b32 v3, 0 :: v_dual_add_nc_u32 v8, 1, v2
	s_delay_alu instid0(VALU_DEP_1)
	v_cndmask_b32_e32 v2, v2, v8, vcc_lo
.LBB23_9:
	s_or_b32 exec_lo, exec_lo, s2
	s_delay_alu instid0(VALU_DEP_1) | instskip(NEXT) | instid1(VALU_DEP_2)
	v_mul_lo_u32 v11, s8, v2
	v_mul_lo_u32 v12, s3, v3
	v_mad_u64_u32 v[8:9], null, s3, v2, 0
	s_delay_alu instid0(VALU_DEP_1) | instskip(NEXT) | instid1(VALU_DEP_2)
	v_add3_u32 v9, v9, v12, v11
	v_sub_co_u32 v12, vcc_lo, v6, v8
	v_mov_b32_e32 v6, 0
	s_delay_alu instid0(VALU_DEP_3) | instskip(NEXT) | instid1(VALU_DEP_1)
	v_sub_co_ci_u32_e32 v13, vcc_lo, v7, v9, vcc_lo
	v_or_b32_e32 v7, s23, v13
	s_delay_alu instid0(VALU_DEP_1) | instskip(SKIP_1) | instid1(SALU_CYCLE_1)
	v_cmp_ne_u64_e32 vcc_lo, 0, v[6:7]
                                        ; implicit-def: $vgpr6_vgpr7
	s_and_saveexec_b32 s2, vcc_lo
	s_xor_b32 s3, exec_lo, s2
	s_cbranch_execz .LBB23_11
; %bb.10:
	s_ashr_i32 s4, s23, 31
	s_delay_alu instid0(SALU_CYCLE_1) | instskip(SKIP_2) | instid1(SALU_CYCLE_1)
	s_add_u32 s6, s22, s4
	s_mov_b32 s5, s4
	s_addc_u32 s7, s23, s4
	s_xor_b64 s[6:7], s[6:7], s[4:5]
	s_delay_alu instid0(SALU_CYCLE_1) | instskip(SKIP_3) | instid1(VALU_DEP_1)
	v_cvt_f32_u32_e32 v6, s6
	v_cvt_f32_u32_e32 v7, s7
	s_sub_u32 s2, 0, s6
	s_subb_u32 s5, 0, s7
	v_fmamk_f32 v6, v7, 0x4f800000, v6
	s_delay_alu instid0(VALU_DEP_1) | instskip(SKIP_2) | instid1(VALU_DEP_1)
	v_rcp_f32_e32 v6, v6
	s_waitcnt_depctr 0xfff
	v_mul_f32_e32 v6, 0x5f7ffffc, v6
	v_mul_f32_e32 v7, 0x2f800000, v6
	s_delay_alu instid0(VALU_DEP_1) | instskip(NEXT) | instid1(VALU_DEP_1)
	v_trunc_f32_e32 v7, v7
	v_fmamk_f32 v6, v7, 0xcf800000, v6
	v_cvt_u32_f32_e32 v7, v7
	s_delay_alu instid0(VALU_DEP_2) | instskip(NEXT) | instid1(VALU_DEP_2)
	v_cvt_u32_f32_e32 v6, v6
	v_mul_lo_u32 v8, s2, v7
	s_delay_alu instid0(VALU_DEP_2) | instskip(SKIP_1) | instid1(VALU_DEP_2)
	v_mul_hi_u32 v9, s2, v6
	v_mul_lo_u32 v11, s5, v6
	v_add_nc_u32_e32 v8, v9, v8
	v_mul_lo_u32 v9, s2, v6
	s_delay_alu instid0(VALU_DEP_2) | instskip(NEXT) | instid1(VALU_DEP_2)
	v_add_nc_u32_e32 v8, v8, v11
	v_mul_hi_u32 v11, v6, v9
	s_delay_alu instid0(VALU_DEP_2)
	v_mul_lo_u32 v14, v6, v8
	v_mul_hi_u32 v15, v6, v8
	v_mul_hi_u32 v16, v7, v9
	v_mul_lo_u32 v9, v7, v9
	v_mul_hi_u32 v17, v7, v8
	v_mul_lo_u32 v8, v7, v8
	v_add_co_u32 v11, vcc_lo, v11, v14
	v_add_co_ci_u32_e32 v14, vcc_lo, 0, v15, vcc_lo
	s_delay_alu instid0(VALU_DEP_2) | instskip(NEXT) | instid1(VALU_DEP_2)
	v_add_co_u32 v9, vcc_lo, v11, v9
	v_add_co_ci_u32_e32 v9, vcc_lo, v14, v16, vcc_lo
	v_add_co_ci_u32_e32 v11, vcc_lo, 0, v17, vcc_lo
	v_ashrrev_i32_e32 v16, 31, v13
	s_delay_alu instid0(VALU_DEP_3) | instskip(NEXT) | instid1(VALU_DEP_3)
	v_add_co_u32 v8, vcc_lo, v9, v8
	v_add_co_ci_u32_e32 v9, vcc_lo, 0, v11, vcc_lo
	s_delay_alu instid0(VALU_DEP_2) | instskip(NEXT) | instid1(VALU_DEP_2)
	v_add_co_u32 v6, vcc_lo, v6, v8
	v_add_co_ci_u32_e32 v7, vcc_lo, v7, v9, vcc_lo
	s_delay_alu instid0(VALU_DEP_2) | instskip(SKIP_1) | instid1(VALU_DEP_3)
	v_mul_hi_u32 v8, s2, v6
	v_mul_lo_u32 v11, s5, v6
	v_mul_lo_u32 v9, s2, v7
	s_delay_alu instid0(VALU_DEP_1) | instskip(SKIP_1) | instid1(VALU_DEP_2)
	v_add_nc_u32_e32 v8, v8, v9
	v_mul_lo_u32 v9, s2, v6
	v_add_nc_u32_e32 v8, v8, v11
	s_delay_alu instid0(VALU_DEP_2) | instskip(NEXT) | instid1(VALU_DEP_2)
	v_mul_hi_u32 v11, v6, v9
	v_mul_lo_u32 v14, v6, v8
	v_mul_hi_u32 v15, v6, v8
	v_mul_hi_u32 v17, v7, v9
	v_mul_lo_u32 v9, v7, v9
	v_mul_hi_u32 v18, v7, v8
	v_mul_lo_u32 v8, v7, v8
	v_add_co_u32 v11, vcc_lo, v11, v14
	v_add_co_ci_u32_e32 v14, vcc_lo, 0, v15, vcc_lo
	s_delay_alu instid0(VALU_DEP_2) | instskip(NEXT) | instid1(VALU_DEP_2)
	v_add_co_u32 v9, vcc_lo, v11, v9
	v_add_co_ci_u32_e32 v9, vcc_lo, v14, v17, vcc_lo
	v_add_co_ci_u32_e32 v11, vcc_lo, 0, v18, vcc_lo
	v_add_co_u32 v14, vcc_lo, v12, v16
	v_add_co_ci_u32_e32 v15, vcc_lo, v13, v16, vcc_lo
	s_delay_alu instid0(VALU_DEP_4) | instskip(NEXT) | instid1(VALU_DEP_4)
	v_add_co_u32 v8, vcc_lo, v9, v8
	v_add_co_ci_u32_e32 v9, vcc_lo, 0, v11, vcc_lo
	s_delay_alu instid0(VALU_DEP_4) | instskip(NEXT) | instid1(VALU_DEP_3)
	v_xor_b32_e32 v11, v14, v16
	v_add_co_u32 v14, vcc_lo, v6, v8
	s_delay_alu instid0(VALU_DEP_3) | instskip(SKIP_1) | instid1(VALU_DEP_3)
	v_add_co_ci_u32_e32 v17, vcc_lo, v7, v9, vcc_lo
	v_xor_b32_e32 v18, v15, v16
	v_mul_hi_u32 v19, v11, v14
	s_delay_alu instid0(VALU_DEP_3) | instskip(NEXT) | instid1(VALU_DEP_3)
	v_mad_u64_u32 v[6:7], null, v11, v17, 0
	v_mad_u64_u32 v[8:9], null, v18, v14, 0
	;; [unrolled: 1-line block ×3, first 2 shown]
	s_delay_alu instid0(VALU_DEP_3) | instskip(NEXT) | instid1(VALU_DEP_4)
	v_add_co_u32 v6, vcc_lo, v19, v6
	v_add_co_ci_u32_e32 v7, vcc_lo, 0, v7, vcc_lo
	s_delay_alu instid0(VALU_DEP_2) | instskip(NEXT) | instid1(VALU_DEP_2)
	v_add_co_u32 v6, vcc_lo, v6, v8
	v_add_co_ci_u32_e32 v6, vcc_lo, v7, v9, vcc_lo
	v_add_co_ci_u32_e32 v7, vcc_lo, 0, v15, vcc_lo
	s_delay_alu instid0(VALU_DEP_2) | instskip(NEXT) | instid1(VALU_DEP_2)
	v_add_co_u32 v8, vcc_lo, v6, v14
	v_add_co_ci_u32_e32 v9, vcc_lo, 0, v7, vcc_lo
	s_delay_alu instid0(VALU_DEP_2) | instskip(SKIP_1) | instid1(VALU_DEP_3)
	v_mul_lo_u32 v14, s7, v8
	v_mad_u64_u32 v[6:7], null, s6, v8, 0
	v_mul_lo_u32 v15, s6, v9
	s_delay_alu instid0(VALU_DEP_2) | instskip(NEXT) | instid1(VALU_DEP_2)
	v_sub_co_u32 v6, vcc_lo, v11, v6
	v_add3_u32 v7, v7, v15, v14
	s_delay_alu instid0(VALU_DEP_1) | instskip(NEXT) | instid1(VALU_DEP_1)
	v_sub_nc_u32_e32 v14, v18, v7
	v_subrev_co_ci_u32_e64 v11, s2, s7, v14, vcc_lo
	v_add_co_u32 v14, s2, v8, 2
	s_delay_alu instid0(VALU_DEP_1) | instskip(SKIP_3) | instid1(VALU_DEP_3)
	v_add_co_ci_u32_e64 v15, s2, 0, v9, s2
	v_sub_co_u32 v17, s2, v6, s6
	v_sub_co_ci_u32_e32 v7, vcc_lo, v18, v7, vcc_lo
	v_subrev_co_ci_u32_e64 v11, s2, 0, v11, s2
	v_cmp_le_u32_e32 vcc_lo, s6, v17
	s_delay_alu instid0(VALU_DEP_3) | instskip(SKIP_1) | instid1(VALU_DEP_4)
	v_cmp_eq_u32_e64 s2, s7, v7
	v_cndmask_b32_e64 v17, 0, -1, vcc_lo
	v_cmp_le_u32_e32 vcc_lo, s7, v11
	v_cndmask_b32_e64 v18, 0, -1, vcc_lo
	v_cmp_le_u32_e32 vcc_lo, s6, v6
	;; [unrolled: 2-line block ×3, first 2 shown]
	v_cndmask_b32_e64 v19, 0, -1, vcc_lo
	v_cmp_eq_u32_e32 vcc_lo, s7, v11
	s_delay_alu instid0(VALU_DEP_2) | instskip(SKIP_3) | instid1(VALU_DEP_3)
	v_cndmask_b32_e64 v6, v19, v6, s2
	v_cndmask_b32_e32 v11, v18, v17, vcc_lo
	v_add_co_u32 v17, vcc_lo, v8, 1
	v_add_co_ci_u32_e32 v18, vcc_lo, 0, v9, vcc_lo
	v_cmp_ne_u32_e32 vcc_lo, 0, v11
	s_delay_alu instid0(VALU_DEP_3) | instskip(NEXT) | instid1(VALU_DEP_3)
	v_cndmask_b32_e32 v11, v17, v14, vcc_lo
	v_cndmask_b32_e32 v7, v18, v15, vcc_lo
	v_cmp_ne_u32_e32 vcc_lo, 0, v6
	v_xor_b32_e32 v14, s4, v16
	s_delay_alu instid0(VALU_DEP_3) | instskip(SKIP_1) | instid1(VALU_DEP_2)
	v_cndmask_b32_e32 v6, v9, v7, vcc_lo
	v_cndmask_b32_e32 v7, v8, v11, vcc_lo
	v_xor_b32_e32 v8, v6, v14
	s_delay_alu instid0(VALU_DEP_2) | instskip(NEXT) | instid1(VALU_DEP_1)
	v_xor_b32_e32 v7, v7, v14
	v_sub_co_u32 v6, vcc_lo, v7, v14
	s_delay_alu instid0(VALU_DEP_3)
	v_sub_co_ci_u32_e32 v7, vcc_lo, v8, v14, vcc_lo
.LBB23_11:
	s_and_not1_saveexec_b32 s2, s3
	s_cbranch_execz .LBB23_13
; %bb.12:
	v_cvt_f32_u32_e32 v6, s22
	s_sub_i32 s3, 0, s22
	s_delay_alu instid0(VALU_DEP_1) | instskip(SKIP_2) | instid1(VALU_DEP_1)
	v_rcp_iflag_f32_e32 v6, v6
	s_waitcnt_depctr 0xfff
	v_mul_f32_e32 v6, 0x4f7ffffe, v6
	v_cvt_u32_f32_e32 v6, v6
	s_delay_alu instid0(VALU_DEP_1) | instskip(NEXT) | instid1(VALU_DEP_1)
	v_mul_lo_u32 v7, s3, v6
	v_mul_hi_u32 v7, v6, v7
	s_delay_alu instid0(VALU_DEP_1) | instskip(NEXT) | instid1(VALU_DEP_1)
	v_add_nc_u32_e32 v6, v6, v7
	v_mul_hi_u32 v6, v12, v6
	s_delay_alu instid0(VALU_DEP_1) | instskip(SKIP_1) | instid1(VALU_DEP_2)
	v_mul_lo_u32 v7, v6, s22
	v_add_nc_u32_e32 v8, 1, v6
	v_sub_nc_u32_e32 v7, v12, v7
	s_delay_alu instid0(VALU_DEP_1) | instskip(SKIP_1) | instid1(VALU_DEP_2)
	v_subrev_nc_u32_e32 v9, s22, v7
	v_cmp_le_u32_e32 vcc_lo, s22, v7
	v_dual_cndmask_b32 v7, v7, v9 :: v_dual_cndmask_b32 v6, v6, v8
	s_delay_alu instid0(VALU_DEP_1) | instskip(NEXT) | instid1(VALU_DEP_2)
	v_cmp_le_u32_e32 vcc_lo, s22, v7
	v_dual_mov_b32 v7, 0 :: v_dual_add_nc_u32 v8, 1, v6
	s_delay_alu instid0(VALU_DEP_1)
	v_cndmask_b32_e32 v6, v6, v8, vcc_lo
.LBB23_13:
	s_or_b32 exec_lo, exec_lo, s2
	s_load_b512 s[36:51], s[0:1], 0x40
	v_mov_b32_e32 v8, 0
	s_waitcnt lgkmcnt(0)
	s_mul_i32 s2, s42, s41
	s_mul_hi_u32 s4, s42, s40
	s_mul_i32 s5, s43, s40
	s_mul_i32 s3, s42, s40
	s_add_i32 s8, s4, s2
	s_mul_i32 s2, s3, s45
	s_mul_hi_u32 s4, s3, s44
	s_add_i32 s8, s8, s5
	s_add_i32 s2, s4, s2
	s_mul_i32 s4, s8, s44
	s_mul_i32 s10, s3, s44
	s_add_i32 s9, s2, s4
	s_delay_alu instid0(SALU_CYCLE_1) | instskip(NEXT) | instid1(VALU_DEP_1)
	v_or_b32_e32 v9, s9, v5
	v_cmp_ne_u64_e32 vcc_lo, 0, v[8:9]
                                        ; implicit-def: $vgpr8_vgpr9
	s_and_saveexec_b32 s2, vcc_lo
	s_delay_alu instid0(SALU_CYCLE_1)
	s_xor_b32 s11, exec_lo, s2
	s_cbranch_execz .LBB23_15
; %bb.14:
	s_ashr_i32 s4, s9, 31
	s_delay_alu instid0(SALU_CYCLE_1) | instskip(SKIP_2) | instid1(SALU_CYCLE_1)
	s_add_u32 s6, s10, s4
	s_mov_b32 s5, s4
	s_addc_u32 s7, s9, s4
	s_xor_b64 s[6:7], s[6:7], s[4:5]
	s_delay_alu instid0(SALU_CYCLE_1) | instskip(SKIP_3) | instid1(VALU_DEP_1)
	v_cvt_f32_u32_e32 v8, s6
	v_cvt_f32_u32_e32 v9, s7
	s_sub_u32 s2, 0, s6
	s_subb_u32 s5, 0, s7
	v_fmamk_f32 v8, v9, 0x4f800000, v8
	s_delay_alu instid0(VALU_DEP_1) | instskip(SKIP_2) | instid1(VALU_DEP_1)
	v_rcp_f32_e32 v8, v8
	s_waitcnt_depctr 0xfff
	v_mul_f32_e32 v8, 0x5f7ffffc, v8
	v_mul_f32_e32 v9, 0x2f800000, v8
	s_delay_alu instid0(VALU_DEP_1) | instskip(NEXT) | instid1(VALU_DEP_1)
	v_trunc_f32_e32 v9, v9
	v_fmamk_f32 v8, v9, 0xcf800000, v8
	v_cvt_u32_f32_e32 v9, v9
	s_delay_alu instid0(VALU_DEP_2) | instskip(NEXT) | instid1(VALU_DEP_2)
	v_cvt_u32_f32_e32 v8, v8
	v_mul_lo_u32 v11, s2, v9
	s_delay_alu instid0(VALU_DEP_2) | instskip(SKIP_1) | instid1(VALU_DEP_2)
	v_mul_hi_u32 v14, s2, v8
	v_mul_lo_u32 v15, s5, v8
	v_add_nc_u32_e32 v11, v14, v11
	v_mul_lo_u32 v14, s2, v8
	s_delay_alu instid0(VALU_DEP_2) | instskip(NEXT) | instid1(VALU_DEP_2)
	v_add_nc_u32_e32 v11, v11, v15
	v_mul_hi_u32 v15, v8, v14
	s_delay_alu instid0(VALU_DEP_2)
	v_mul_lo_u32 v16, v8, v11
	v_mul_hi_u32 v17, v8, v11
	v_mul_hi_u32 v18, v9, v14
	v_mul_lo_u32 v14, v9, v14
	v_mul_hi_u32 v19, v9, v11
	v_mul_lo_u32 v11, v9, v11
	v_add_co_u32 v15, vcc_lo, v15, v16
	v_add_co_ci_u32_e32 v16, vcc_lo, 0, v17, vcc_lo
	s_delay_alu instid0(VALU_DEP_2) | instskip(NEXT) | instid1(VALU_DEP_2)
	v_add_co_u32 v14, vcc_lo, v15, v14
	v_add_co_ci_u32_e32 v14, vcc_lo, v16, v18, vcc_lo
	v_add_co_ci_u32_e32 v15, vcc_lo, 0, v19, vcc_lo
	s_delay_alu instid0(VALU_DEP_2) | instskip(NEXT) | instid1(VALU_DEP_2)
	v_add_co_u32 v11, vcc_lo, v14, v11
	v_add_co_ci_u32_e32 v14, vcc_lo, 0, v15, vcc_lo
	s_delay_alu instid0(VALU_DEP_2) | instskip(NEXT) | instid1(VALU_DEP_2)
	v_add_co_u32 v8, vcc_lo, v8, v11
	v_add_co_ci_u32_e32 v9, vcc_lo, v9, v14, vcc_lo
	s_delay_alu instid0(VALU_DEP_2) | instskip(SKIP_1) | instid1(VALU_DEP_3)
	v_mul_hi_u32 v11, s2, v8
	v_mul_lo_u32 v15, s5, v8
	v_mul_lo_u32 v14, s2, v9
	s_delay_alu instid0(VALU_DEP_1) | instskip(SKIP_1) | instid1(VALU_DEP_2)
	v_add_nc_u32_e32 v11, v11, v14
	v_mul_lo_u32 v14, s2, v8
	v_add_nc_u32_e32 v11, v11, v15
	s_delay_alu instid0(VALU_DEP_2) | instskip(NEXT) | instid1(VALU_DEP_2)
	v_mul_hi_u32 v15, v8, v14
	v_mul_lo_u32 v16, v8, v11
	v_mul_hi_u32 v17, v8, v11
	v_mul_hi_u32 v18, v9, v14
	v_mul_lo_u32 v14, v9, v14
	v_mul_hi_u32 v19, v9, v11
	v_mul_lo_u32 v11, v9, v11
	v_add_co_u32 v15, vcc_lo, v15, v16
	v_add_co_ci_u32_e32 v16, vcc_lo, 0, v17, vcc_lo
	s_delay_alu instid0(VALU_DEP_2) | instskip(NEXT) | instid1(VALU_DEP_2)
	v_add_co_u32 v14, vcc_lo, v15, v14
	v_add_co_ci_u32_e32 v14, vcc_lo, v16, v18, vcc_lo
	v_add_co_ci_u32_e32 v15, vcc_lo, 0, v19, vcc_lo
	v_add_co_u32 v16, vcc_lo, v4, v10
	v_add_co_ci_u32_e32 v17, vcc_lo, v5, v10, vcc_lo
	s_delay_alu instid0(VALU_DEP_4) | instskip(NEXT) | instid1(VALU_DEP_4)
	v_add_co_u32 v11, vcc_lo, v14, v11
	v_add_co_ci_u32_e32 v14, vcc_lo, 0, v15, vcc_lo
	s_delay_alu instid0(VALU_DEP_4) | instskip(NEXT) | instid1(VALU_DEP_3)
	v_xor_b32_e32 v18, v16, v10
	v_add_co_u32 v11, vcc_lo, v8, v11
	s_delay_alu instid0(VALU_DEP_3) | instskip(SKIP_1) | instid1(VALU_DEP_3)
	v_add_co_ci_u32_e32 v19, vcc_lo, v9, v14, vcc_lo
	v_xor_b32_e32 v20, v17, v10
	v_mul_hi_u32 v21, v18, v11
	v_xor_b32_e32 v10, s4, v10
	s_delay_alu instid0(VALU_DEP_4) | instskip(NEXT) | instid1(VALU_DEP_4)
	v_mad_u64_u32 v[8:9], null, v18, v19, 0
	v_mad_u64_u32 v[14:15], null, v20, v11, 0
	;; [unrolled: 1-line block ×3, first 2 shown]
	s_delay_alu instid0(VALU_DEP_3) | instskip(NEXT) | instid1(VALU_DEP_4)
	v_add_co_u32 v8, vcc_lo, v21, v8
	v_add_co_ci_u32_e32 v9, vcc_lo, 0, v9, vcc_lo
	s_delay_alu instid0(VALU_DEP_2) | instskip(NEXT) | instid1(VALU_DEP_2)
	v_add_co_u32 v8, vcc_lo, v8, v14
	v_add_co_ci_u32_e32 v8, vcc_lo, v9, v15, vcc_lo
	v_add_co_ci_u32_e32 v9, vcc_lo, 0, v17, vcc_lo
	s_delay_alu instid0(VALU_DEP_2) | instskip(NEXT) | instid1(VALU_DEP_2)
	v_add_co_u32 v11, vcc_lo, v8, v16
	v_add_co_ci_u32_e32 v14, vcc_lo, 0, v9, vcc_lo
	s_delay_alu instid0(VALU_DEP_2) | instskip(SKIP_1) | instid1(VALU_DEP_3)
	v_mul_lo_u32 v15, s7, v11
	v_mad_u64_u32 v[8:9], null, s6, v11, 0
	v_mul_lo_u32 v16, s6, v14
	s_delay_alu instid0(VALU_DEP_2) | instskip(NEXT) | instid1(VALU_DEP_2)
	v_sub_co_u32 v8, vcc_lo, v18, v8
	v_add3_u32 v9, v9, v16, v15
	s_delay_alu instid0(VALU_DEP_1) | instskip(NEXT) | instid1(VALU_DEP_1)
	v_sub_nc_u32_e32 v15, v20, v9
	v_subrev_co_ci_u32_e64 v15, s2, s7, v15, vcc_lo
	v_add_co_u32 v16, s2, v11, 2
	s_delay_alu instid0(VALU_DEP_1) | instskip(SKIP_3) | instid1(VALU_DEP_3)
	v_add_co_ci_u32_e64 v17, s2, 0, v14, s2
	v_sub_co_u32 v18, s2, v8, s6
	v_sub_co_ci_u32_e32 v9, vcc_lo, v20, v9, vcc_lo
	v_subrev_co_ci_u32_e64 v15, s2, 0, v15, s2
	v_cmp_le_u32_e32 vcc_lo, s6, v18
	s_delay_alu instid0(VALU_DEP_3) | instskip(SKIP_1) | instid1(VALU_DEP_4)
	v_cmp_eq_u32_e64 s2, s7, v9
	v_cndmask_b32_e64 v18, 0, -1, vcc_lo
	v_cmp_le_u32_e32 vcc_lo, s7, v15
	v_cndmask_b32_e64 v19, 0, -1, vcc_lo
	v_cmp_le_u32_e32 vcc_lo, s6, v8
	v_cndmask_b32_e64 v8, 0, -1, vcc_lo
	v_cmp_le_u32_e32 vcc_lo, s7, v9
	v_cndmask_b32_e64 v20, 0, -1, vcc_lo
	v_cmp_eq_u32_e32 vcc_lo, s7, v15
	s_delay_alu instid0(VALU_DEP_2) | instskip(SKIP_3) | instid1(VALU_DEP_3)
	v_cndmask_b32_e64 v8, v20, v8, s2
	v_cndmask_b32_e32 v15, v19, v18, vcc_lo
	v_add_co_u32 v18, vcc_lo, v11, 1
	v_add_co_ci_u32_e32 v19, vcc_lo, 0, v14, vcc_lo
	v_cmp_ne_u32_e32 vcc_lo, 0, v15
	s_delay_alu instid0(VALU_DEP_2) | instskip(NEXT) | instid1(VALU_DEP_4)
	v_cndmask_b32_e32 v9, v19, v17, vcc_lo
	v_cndmask_b32_e32 v15, v18, v16, vcc_lo
	v_cmp_ne_u32_e32 vcc_lo, 0, v8
	s_delay_alu instid0(VALU_DEP_2) | instskip(NEXT) | instid1(VALU_DEP_1)
	v_dual_cndmask_b32 v8, v14, v9 :: v_dual_cndmask_b32 v9, v11, v15
	v_xor_b32_e32 v11, v8, v10
	s_delay_alu instid0(VALU_DEP_2) | instskip(NEXT) | instid1(VALU_DEP_1)
	v_xor_b32_e32 v9, v9, v10
	v_sub_co_u32 v8, vcc_lo, v9, v10
	s_delay_alu instid0(VALU_DEP_3)
	v_sub_co_ci_u32_e32 v9, vcc_lo, v11, v10, vcc_lo
.LBB23_15:
	s_and_not1_saveexec_b32 s2, s11
	s_cbranch_execz .LBB23_17
; %bb.16:
	v_cvt_f32_u32_e32 v8, s10
	s_sub_i32 s4, 0, s10
	s_delay_alu instid0(VALU_DEP_1) | instskip(SKIP_2) | instid1(VALU_DEP_1)
	v_rcp_iflag_f32_e32 v8, v8
	s_waitcnt_depctr 0xfff
	v_mul_f32_e32 v8, 0x4f7ffffe, v8
	v_cvt_u32_f32_e32 v8, v8
	s_delay_alu instid0(VALU_DEP_1) | instskip(NEXT) | instid1(VALU_DEP_1)
	v_mul_lo_u32 v9, s4, v8
	v_mul_hi_u32 v9, v8, v9
	s_delay_alu instid0(VALU_DEP_1) | instskip(NEXT) | instid1(VALU_DEP_1)
	v_add_nc_u32_e32 v8, v8, v9
	v_mul_hi_u32 v8, v4, v8
	s_delay_alu instid0(VALU_DEP_1) | instskip(SKIP_1) | instid1(VALU_DEP_2)
	v_mul_lo_u32 v9, v8, s10
	v_add_nc_u32_e32 v10, 1, v8
	v_sub_nc_u32_e32 v9, v4, v9
	s_delay_alu instid0(VALU_DEP_1) | instskip(SKIP_1) | instid1(VALU_DEP_2)
	v_subrev_nc_u32_e32 v11, s10, v9
	v_cmp_le_u32_e32 vcc_lo, s10, v9
	v_dual_cndmask_b32 v9, v9, v11 :: v_dual_cndmask_b32 v8, v8, v10
	s_delay_alu instid0(VALU_DEP_1) | instskip(NEXT) | instid1(VALU_DEP_2)
	v_cmp_le_u32_e32 vcc_lo, s10, v9
	v_dual_mov_b32 v9, 0 :: v_dual_add_nc_u32 v10, 1, v8
	s_delay_alu instid0(VALU_DEP_1)
	v_cndmask_b32_e32 v8, v8, v10, vcc_lo
.LBB23_17:
	s_or_b32 exec_lo, exec_lo, s2
	s_delay_alu instid0(VALU_DEP_1) | instskip(NEXT) | instid1(VALU_DEP_2)
	v_mul_lo_u32 v14, s9, v8
	v_mul_lo_u32 v15, s10, v9
	v_mad_u64_u32 v[10:11], null, s10, v8, 0
	s_delay_alu instid0(VALU_DEP_1) | instskip(NEXT) | instid1(VALU_DEP_2)
	v_add3_u32 v11, v11, v15, v14
	v_sub_co_u32 v10, vcc_lo, v4, v10
	v_mov_b32_e32 v4, 0
	s_delay_alu instid0(VALU_DEP_3) | instskip(NEXT) | instid1(VALU_DEP_1)
	v_sub_co_ci_u32_e32 v11, vcc_lo, v5, v11, vcc_lo
	v_or_b32_e32 v5, s8, v11
	s_delay_alu instid0(VALU_DEP_1) | instskip(SKIP_1) | instid1(SALU_CYCLE_1)
	v_cmp_ne_u64_e32 vcc_lo, 0, v[4:5]
                                        ; implicit-def: $vgpr4_vgpr5
	s_and_saveexec_b32 s2, vcc_lo
	s_xor_b32 s9, exec_lo, s2
	s_cbranch_execz .LBB23_19
; %bb.18:
	s_ashr_i32 s4, s8, 31
	s_delay_alu instid0(SALU_CYCLE_1) | instskip(SKIP_2) | instid1(SALU_CYCLE_1)
	s_add_u32 s6, s3, s4
	s_mov_b32 s5, s4
	s_addc_u32 s7, s8, s4
	s_xor_b64 s[6:7], s[6:7], s[4:5]
	s_delay_alu instid0(SALU_CYCLE_1) | instskip(SKIP_3) | instid1(VALU_DEP_1)
	v_cvt_f32_u32_e32 v4, s6
	v_cvt_f32_u32_e32 v5, s7
	s_sub_u32 s2, 0, s6
	s_subb_u32 s5, 0, s7
	v_fmamk_f32 v4, v5, 0x4f800000, v4
	s_delay_alu instid0(VALU_DEP_1) | instskip(SKIP_2) | instid1(VALU_DEP_1)
	v_rcp_f32_e32 v4, v4
	s_waitcnt_depctr 0xfff
	v_mul_f32_e32 v4, 0x5f7ffffc, v4
	v_mul_f32_e32 v5, 0x2f800000, v4
	s_delay_alu instid0(VALU_DEP_1) | instskip(NEXT) | instid1(VALU_DEP_1)
	v_trunc_f32_e32 v5, v5
	v_fmamk_f32 v4, v5, 0xcf800000, v4
	v_cvt_u32_f32_e32 v5, v5
	s_delay_alu instid0(VALU_DEP_2) | instskip(NEXT) | instid1(VALU_DEP_2)
	v_cvt_u32_f32_e32 v4, v4
	v_mul_lo_u32 v14, s2, v5
	s_delay_alu instid0(VALU_DEP_2) | instskip(SKIP_1) | instid1(VALU_DEP_2)
	v_mul_hi_u32 v15, s2, v4
	v_mul_lo_u32 v16, s5, v4
	v_add_nc_u32_e32 v14, v15, v14
	v_mul_lo_u32 v15, s2, v4
	s_delay_alu instid0(VALU_DEP_2) | instskip(NEXT) | instid1(VALU_DEP_2)
	v_add_nc_u32_e32 v14, v14, v16
	v_mul_hi_u32 v16, v4, v15
	s_delay_alu instid0(VALU_DEP_2)
	v_mul_lo_u32 v17, v4, v14
	v_mul_hi_u32 v18, v4, v14
	v_mul_hi_u32 v19, v5, v15
	v_mul_lo_u32 v15, v5, v15
	v_mul_hi_u32 v20, v5, v14
	v_mul_lo_u32 v14, v5, v14
	v_add_co_u32 v16, vcc_lo, v16, v17
	v_add_co_ci_u32_e32 v17, vcc_lo, 0, v18, vcc_lo
	s_delay_alu instid0(VALU_DEP_2) | instskip(NEXT) | instid1(VALU_DEP_2)
	v_add_co_u32 v15, vcc_lo, v16, v15
	v_add_co_ci_u32_e32 v15, vcc_lo, v17, v19, vcc_lo
	v_add_co_ci_u32_e32 v16, vcc_lo, 0, v20, vcc_lo
	v_ashrrev_i32_e32 v19, 31, v11
	s_delay_alu instid0(VALU_DEP_3) | instskip(NEXT) | instid1(VALU_DEP_3)
	v_add_co_u32 v14, vcc_lo, v15, v14
	v_add_co_ci_u32_e32 v15, vcc_lo, 0, v16, vcc_lo
	s_delay_alu instid0(VALU_DEP_2) | instskip(NEXT) | instid1(VALU_DEP_2)
	v_add_co_u32 v4, vcc_lo, v4, v14
	v_add_co_ci_u32_e32 v5, vcc_lo, v5, v15, vcc_lo
	s_delay_alu instid0(VALU_DEP_2) | instskip(SKIP_1) | instid1(VALU_DEP_3)
	v_mul_hi_u32 v14, s2, v4
	v_mul_lo_u32 v16, s5, v4
	v_mul_lo_u32 v15, s2, v5
	s_delay_alu instid0(VALU_DEP_1) | instskip(SKIP_1) | instid1(VALU_DEP_2)
	v_add_nc_u32_e32 v14, v14, v15
	v_mul_lo_u32 v15, s2, v4
	v_add_nc_u32_e32 v14, v14, v16
	s_delay_alu instid0(VALU_DEP_2) | instskip(NEXT) | instid1(VALU_DEP_2)
	v_mul_hi_u32 v16, v4, v15
	v_mul_lo_u32 v17, v4, v14
	v_mul_hi_u32 v18, v4, v14
	v_mul_hi_u32 v20, v5, v15
	v_mul_lo_u32 v15, v5, v15
	v_mul_hi_u32 v21, v5, v14
	v_mul_lo_u32 v14, v5, v14
	v_add_co_u32 v16, vcc_lo, v16, v17
	v_add_co_ci_u32_e32 v17, vcc_lo, 0, v18, vcc_lo
	s_delay_alu instid0(VALU_DEP_2) | instskip(NEXT) | instid1(VALU_DEP_2)
	v_add_co_u32 v15, vcc_lo, v16, v15
	v_add_co_ci_u32_e32 v15, vcc_lo, v17, v20, vcc_lo
	v_add_co_ci_u32_e32 v16, vcc_lo, 0, v21, vcc_lo
	v_add_co_u32 v17, vcc_lo, v10, v19
	v_add_co_ci_u32_e32 v18, vcc_lo, v11, v19, vcc_lo
	s_delay_alu instid0(VALU_DEP_4) | instskip(NEXT) | instid1(VALU_DEP_4)
	v_add_co_u32 v14, vcc_lo, v15, v14
	v_add_co_ci_u32_e32 v15, vcc_lo, 0, v16, vcc_lo
	s_delay_alu instid0(VALU_DEP_4) | instskip(NEXT) | instid1(VALU_DEP_3)
	v_xor_b32_e32 v20, v17, v19
	v_add_co_u32 v16, vcc_lo, v4, v14
	s_delay_alu instid0(VALU_DEP_3) | instskip(SKIP_1) | instid1(VALU_DEP_3)
	v_add_co_ci_u32_e32 v21, vcc_lo, v5, v15, vcc_lo
	v_xor_b32_e32 v18, v18, v19
	v_mul_hi_u32 v22, v20, v16
	s_delay_alu instid0(VALU_DEP_3) | instskip(NEXT) | instid1(VALU_DEP_3)
	v_mad_u64_u32 v[4:5], null, v20, v21, 0
	v_mad_u64_u32 v[14:15], null, v18, v16, 0
	;; [unrolled: 1-line block ×3, first 2 shown]
	s_delay_alu instid0(VALU_DEP_3) | instskip(NEXT) | instid1(VALU_DEP_4)
	v_add_co_u32 v4, vcc_lo, v22, v4
	v_add_co_ci_u32_e32 v5, vcc_lo, 0, v5, vcc_lo
	s_delay_alu instid0(VALU_DEP_2) | instskip(NEXT) | instid1(VALU_DEP_2)
	v_add_co_u32 v4, vcc_lo, v4, v14
	v_add_co_ci_u32_e32 v4, vcc_lo, v5, v15, vcc_lo
	v_add_co_ci_u32_e32 v5, vcc_lo, 0, v17, vcc_lo
	s_delay_alu instid0(VALU_DEP_2) | instskip(NEXT) | instid1(VALU_DEP_2)
	v_add_co_u32 v14, vcc_lo, v4, v16
	v_add_co_ci_u32_e32 v15, vcc_lo, 0, v5, vcc_lo
	s_delay_alu instid0(VALU_DEP_2) | instskip(SKIP_1) | instid1(VALU_DEP_3)
	v_mul_lo_u32 v16, s7, v14
	v_mad_u64_u32 v[4:5], null, s6, v14, 0
	v_mul_lo_u32 v17, s6, v15
	s_delay_alu instid0(VALU_DEP_2) | instskip(NEXT) | instid1(VALU_DEP_2)
	v_sub_co_u32 v4, vcc_lo, v20, v4
	v_add3_u32 v5, v5, v17, v16
	s_delay_alu instid0(VALU_DEP_1) | instskip(NEXT) | instid1(VALU_DEP_1)
	v_sub_nc_u32_e32 v16, v18, v5
	v_subrev_co_ci_u32_e64 v16, s2, s7, v16, vcc_lo
	v_add_co_u32 v17, s2, v14, 2
	s_delay_alu instid0(VALU_DEP_1) | instskip(SKIP_3) | instid1(VALU_DEP_3)
	v_add_co_ci_u32_e64 v20, s2, 0, v15, s2
	v_sub_co_u32 v21, s2, v4, s6
	v_sub_co_ci_u32_e32 v5, vcc_lo, v18, v5, vcc_lo
	v_subrev_co_ci_u32_e64 v16, s2, 0, v16, s2
	v_cmp_le_u32_e32 vcc_lo, s6, v21
	s_delay_alu instid0(VALU_DEP_3) | instskip(SKIP_1) | instid1(VALU_DEP_4)
	v_cmp_eq_u32_e64 s2, s7, v5
	v_cndmask_b32_e64 v18, 0, -1, vcc_lo
	v_cmp_le_u32_e32 vcc_lo, s7, v16
	v_cndmask_b32_e64 v21, 0, -1, vcc_lo
	v_cmp_le_u32_e32 vcc_lo, s6, v4
	;; [unrolled: 2-line block ×3, first 2 shown]
	v_cndmask_b32_e64 v22, 0, -1, vcc_lo
	v_cmp_eq_u32_e32 vcc_lo, s7, v16
	s_delay_alu instid0(VALU_DEP_2) | instskip(SKIP_3) | instid1(VALU_DEP_3)
	v_cndmask_b32_e64 v4, v22, v4, s2
	v_cndmask_b32_e32 v16, v21, v18, vcc_lo
	v_add_co_u32 v18, vcc_lo, v14, 1
	v_add_co_ci_u32_e32 v21, vcc_lo, 0, v15, vcc_lo
	v_cmp_ne_u32_e32 vcc_lo, 0, v16
	s_delay_alu instid0(VALU_DEP_2) | instskip(SKIP_2) | instid1(VALU_DEP_3)
	v_dual_cndmask_b32 v5, v21, v20 :: v_dual_cndmask_b32 v16, v18, v17
	v_cmp_ne_u32_e32 vcc_lo, 0, v4
	v_xor_b32_e32 v17, s4, v19
	v_dual_cndmask_b32 v4, v15, v5 :: v_dual_cndmask_b32 v5, v14, v16
	s_delay_alu instid0(VALU_DEP_1) | instskip(NEXT) | instid1(VALU_DEP_2)
	v_xor_b32_e32 v14, v4, v17
	v_xor_b32_e32 v5, v5, v17
	s_delay_alu instid0(VALU_DEP_1) | instskip(NEXT) | instid1(VALU_DEP_3)
	v_sub_co_u32 v4, vcc_lo, v5, v17
	v_sub_co_ci_u32_e32 v5, vcc_lo, v14, v17, vcc_lo
.LBB23_19:
	s_and_not1_saveexec_b32 s2, s9
	s_cbranch_execz .LBB23_21
; %bb.20:
	v_cvt_f32_u32_e32 v4, s3
	s_sub_i32 s4, 0, s3
	s_delay_alu instid0(VALU_DEP_1) | instskip(SKIP_2) | instid1(VALU_DEP_1)
	v_rcp_iflag_f32_e32 v4, v4
	s_waitcnt_depctr 0xfff
	v_mul_f32_e32 v4, 0x4f7ffffe, v4
	v_cvt_u32_f32_e32 v4, v4
	s_delay_alu instid0(VALU_DEP_1) | instskip(NEXT) | instid1(VALU_DEP_1)
	v_mul_lo_u32 v5, s4, v4
	v_mul_hi_u32 v5, v4, v5
	s_delay_alu instid0(VALU_DEP_1) | instskip(NEXT) | instid1(VALU_DEP_1)
	v_add_nc_u32_e32 v4, v4, v5
	v_mul_hi_u32 v4, v10, v4
	s_delay_alu instid0(VALU_DEP_1) | instskip(SKIP_1) | instid1(VALU_DEP_2)
	v_mul_lo_u32 v5, v4, s3
	v_add_nc_u32_e32 v14, 1, v4
	v_sub_nc_u32_e32 v5, v10, v5
	s_delay_alu instid0(VALU_DEP_1) | instskip(SKIP_1) | instid1(VALU_DEP_2)
	v_subrev_nc_u32_e32 v15, s3, v5
	v_cmp_le_u32_e32 vcc_lo, s3, v5
	v_dual_cndmask_b32 v5, v5, v15 :: v_dual_cndmask_b32 v4, v4, v14
	s_delay_alu instid0(VALU_DEP_1) | instskip(NEXT) | instid1(VALU_DEP_2)
	v_cmp_le_u32_e32 vcc_lo, s3, v5
	v_dual_mov_b32 v5, 0 :: v_dual_add_nc_u32 v14, 1, v4
	s_delay_alu instid0(VALU_DEP_1)
	v_cndmask_b32_e32 v4, v4, v14, vcc_lo
.LBB23_21:
	s_or_b32 exec_lo, exec_lo, s2
	s_delay_alu instid0(VALU_DEP_1) | instskip(NEXT) | instid1(VALU_DEP_2)
	v_mul_lo_u32 v16, s8, v4
	v_mul_lo_u32 v17, s3, v5
	v_mad_u64_u32 v[14:15], null, s3, v4, 0
	s_delay_alu instid0(VALU_DEP_1) | instskip(NEXT) | instid1(VALU_DEP_2)
	v_add3_u32 v15, v15, v17, v16
	v_sub_co_u32 v14, vcc_lo, v10, v14
	v_mov_b32_e32 v10, 0
	s_delay_alu instid0(VALU_DEP_3) | instskip(NEXT) | instid1(VALU_DEP_1)
	v_sub_co_ci_u32_e32 v15, vcc_lo, v11, v15, vcc_lo
	v_or_b32_e32 v11, s41, v15
	s_delay_alu instid0(VALU_DEP_1) | instskip(SKIP_1) | instid1(SALU_CYCLE_1)
	v_cmp_ne_u64_e32 vcc_lo, 0, v[10:11]
                                        ; implicit-def: $vgpr10_vgpr11
	s_and_saveexec_b32 s2, vcc_lo
	s_xor_b32 s3, exec_lo, s2
	s_cbranch_execz .LBB23_23
; %bb.22:
	s_ashr_i32 s4, s41, 31
	s_delay_alu instid0(SALU_CYCLE_1) | instskip(SKIP_2) | instid1(SALU_CYCLE_1)
	s_add_u32 s6, s40, s4
	s_mov_b32 s5, s4
	s_addc_u32 s7, s41, s4
	s_xor_b64 s[6:7], s[6:7], s[4:5]
	s_delay_alu instid0(SALU_CYCLE_1) | instskip(SKIP_3) | instid1(VALU_DEP_1)
	v_cvt_f32_u32_e32 v10, s6
	v_cvt_f32_u32_e32 v11, s7
	s_sub_u32 s2, 0, s6
	s_subb_u32 s5, 0, s7
	v_fmamk_f32 v10, v11, 0x4f800000, v10
	s_delay_alu instid0(VALU_DEP_1) | instskip(SKIP_2) | instid1(VALU_DEP_1)
	v_rcp_f32_e32 v10, v10
	s_waitcnt_depctr 0xfff
	v_mul_f32_e32 v10, 0x5f7ffffc, v10
	v_mul_f32_e32 v11, 0x2f800000, v10
	s_delay_alu instid0(VALU_DEP_1) | instskip(NEXT) | instid1(VALU_DEP_1)
	v_trunc_f32_e32 v11, v11
	v_fmamk_f32 v10, v11, 0xcf800000, v10
	v_cvt_u32_f32_e32 v11, v11
	s_delay_alu instid0(VALU_DEP_2) | instskip(NEXT) | instid1(VALU_DEP_2)
	v_cvt_u32_f32_e32 v10, v10
	v_mul_lo_u32 v16, s2, v11
	s_delay_alu instid0(VALU_DEP_2) | instskip(SKIP_1) | instid1(VALU_DEP_2)
	v_mul_hi_u32 v17, s2, v10
	v_mul_lo_u32 v18, s5, v10
	v_add_nc_u32_e32 v16, v17, v16
	v_mul_lo_u32 v17, s2, v10
	s_delay_alu instid0(VALU_DEP_2) | instskip(NEXT) | instid1(VALU_DEP_2)
	v_add_nc_u32_e32 v16, v16, v18
	v_mul_hi_u32 v18, v10, v17
	s_delay_alu instid0(VALU_DEP_2)
	v_mul_lo_u32 v19, v10, v16
	v_mul_hi_u32 v20, v10, v16
	v_mul_hi_u32 v21, v11, v17
	v_mul_lo_u32 v17, v11, v17
	v_mul_hi_u32 v22, v11, v16
	v_mul_lo_u32 v16, v11, v16
	v_add_co_u32 v18, vcc_lo, v18, v19
	v_add_co_ci_u32_e32 v19, vcc_lo, 0, v20, vcc_lo
	s_delay_alu instid0(VALU_DEP_2) | instskip(NEXT) | instid1(VALU_DEP_2)
	v_add_co_u32 v17, vcc_lo, v18, v17
	v_add_co_ci_u32_e32 v17, vcc_lo, v19, v21, vcc_lo
	v_add_co_ci_u32_e32 v18, vcc_lo, 0, v22, vcc_lo
	v_ashrrev_i32_e32 v21, 31, v15
	s_delay_alu instid0(VALU_DEP_3) | instskip(NEXT) | instid1(VALU_DEP_3)
	v_add_co_u32 v16, vcc_lo, v17, v16
	v_add_co_ci_u32_e32 v17, vcc_lo, 0, v18, vcc_lo
	s_delay_alu instid0(VALU_DEP_2) | instskip(NEXT) | instid1(VALU_DEP_2)
	v_add_co_u32 v10, vcc_lo, v10, v16
	v_add_co_ci_u32_e32 v11, vcc_lo, v11, v17, vcc_lo
	s_delay_alu instid0(VALU_DEP_2) | instskip(SKIP_1) | instid1(VALU_DEP_3)
	v_mul_hi_u32 v16, s2, v10
	v_mul_lo_u32 v18, s5, v10
	v_mul_lo_u32 v17, s2, v11
	s_delay_alu instid0(VALU_DEP_1) | instskip(SKIP_1) | instid1(VALU_DEP_2)
	v_add_nc_u32_e32 v16, v16, v17
	v_mul_lo_u32 v17, s2, v10
	v_add_nc_u32_e32 v16, v16, v18
	s_delay_alu instid0(VALU_DEP_2) | instskip(NEXT) | instid1(VALU_DEP_2)
	v_mul_hi_u32 v18, v10, v17
	v_mul_lo_u32 v19, v10, v16
	v_mul_hi_u32 v20, v10, v16
	v_mul_hi_u32 v22, v11, v17
	v_mul_lo_u32 v17, v11, v17
	v_mul_hi_u32 v23, v11, v16
	v_mul_lo_u32 v16, v11, v16
	v_add_co_u32 v18, vcc_lo, v18, v19
	v_add_co_ci_u32_e32 v19, vcc_lo, 0, v20, vcc_lo
	s_delay_alu instid0(VALU_DEP_2) | instskip(NEXT) | instid1(VALU_DEP_2)
	v_add_co_u32 v17, vcc_lo, v18, v17
	v_add_co_ci_u32_e32 v17, vcc_lo, v19, v22, vcc_lo
	v_add_co_ci_u32_e32 v18, vcc_lo, 0, v23, vcc_lo
	v_add_co_u32 v19, vcc_lo, v14, v21
	v_add_co_ci_u32_e32 v20, vcc_lo, v15, v21, vcc_lo
	s_delay_alu instid0(VALU_DEP_4) | instskip(NEXT) | instid1(VALU_DEP_4)
	v_add_co_u32 v16, vcc_lo, v17, v16
	v_add_co_ci_u32_e32 v17, vcc_lo, 0, v18, vcc_lo
	s_delay_alu instid0(VALU_DEP_4) | instskip(NEXT) | instid1(VALU_DEP_3)
	v_xor_b32_e32 v22, v19, v21
	v_add_co_u32 v18, vcc_lo, v10, v16
	s_delay_alu instid0(VALU_DEP_3) | instskip(SKIP_1) | instid1(VALU_DEP_3)
	v_add_co_ci_u32_e32 v23, vcc_lo, v11, v17, vcc_lo
	v_xor_b32_e32 v20, v20, v21
	v_mul_hi_u32 v24, v22, v18
	s_delay_alu instid0(VALU_DEP_3) | instskip(NEXT) | instid1(VALU_DEP_3)
	v_mad_u64_u32 v[10:11], null, v22, v23, 0
	v_mad_u64_u32 v[16:17], null, v20, v18, 0
	;; [unrolled: 1-line block ×3, first 2 shown]
	s_delay_alu instid0(VALU_DEP_3) | instskip(NEXT) | instid1(VALU_DEP_4)
	v_add_co_u32 v10, vcc_lo, v24, v10
	v_add_co_ci_u32_e32 v11, vcc_lo, 0, v11, vcc_lo
	s_delay_alu instid0(VALU_DEP_2) | instskip(NEXT) | instid1(VALU_DEP_2)
	v_add_co_u32 v10, vcc_lo, v10, v16
	v_add_co_ci_u32_e32 v10, vcc_lo, v11, v17, vcc_lo
	v_add_co_ci_u32_e32 v11, vcc_lo, 0, v19, vcc_lo
	s_delay_alu instid0(VALU_DEP_2) | instskip(NEXT) | instid1(VALU_DEP_2)
	v_add_co_u32 v16, vcc_lo, v10, v18
	v_add_co_ci_u32_e32 v17, vcc_lo, 0, v11, vcc_lo
	s_delay_alu instid0(VALU_DEP_2) | instskip(SKIP_1) | instid1(VALU_DEP_3)
	v_mul_lo_u32 v18, s7, v16
	v_mad_u64_u32 v[10:11], null, s6, v16, 0
	v_mul_lo_u32 v19, s6, v17
	s_delay_alu instid0(VALU_DEP_2) | instskip(NEXT) | instid1(VALU_DEP_2)
	v_sub_co_u32 v10, vcc_lo, v22, v10
	v_add3_u32 v11, v11, v19, v18
	s_delay_alu instid0(VALU_DEP_1) | instskip(NEXT) | instid1(VALU_DEP_1)
	v_sub_nc_u32_e32 v18, v20, v11
	v_subrev_co_ci_u32_e64 v18, s2, s7, v18, vcc_lo
	v_add_co_u32 v19, s2, v16, 2
	s_delay_alu instid0(VALU_DEP_1) | instskip(SKIP_3) | instid1(VALU_DEP_3)
	v_add_co_ci_u32_e64 v22, s2, 0, v17, s2
	v_sub_co_u32 v23, s2, v10, s6
	v_sub_co_ci_u32_e32 v11, vcc_lo, v20, v11, vcc_lo
	v_subrev_co_ci_u32_e64 v18, s2, 0, v18, s2
	v_cmp_le_u32_e32 vcc_lo, s6, v23
	s_delay_alu instid0(VALU_DEP_3) | instskip(SKIP_1) | instid1(VALU_DEP_4)
	v_cmp_eq_u32_e64 s2, s7, v11
	v_cndmask_b32_e64 v20, 0, -1, vcc_lo
	v_cmp_le_u32_e32 vcc_lo, s7, v18
	v_cndmask_b32_e64 v23, 0, -1, vcc_lo
	v_cmp_le_u32_e32 vcc_lo, s6, v10
	;; [unrolled: 2-line block ×3, first 2 shown]
	v_cndmask_b32_e64 v24, 0, -1, vcc_lo
	v_cmp_eq_u32_e32 vcc_lo, s7, v18
	s_delay_alu instid0(VALU_DEP_2) | instskip(SKIP_3) | instid1(VALU_DEP_3)
	v_cndmask_b32_e64 v10, v24, v10, s2
	v_cndmask_b32_e32 v18, v23, v20, vcc_lo
	v_add_co_u32 v20, vcc_lo, v16, 1
	v_add_co_ci_u32_e32 v23, vcc_lo, 0, v17, vcc_lo
	v_cmp_ne_u32_e32 vcc_lo, 0, v18
	s_delay_alu instid0(VALU_DEP_2) | instskip(SKIP_2) | instid1(VALU_DEP_3)
	v_dual_cndmask_b32 v11, v23, v22 :: v_dual_cndmask_b32 v18, v20, v19
	v_cmp_ne_u32_e32 vcc_lo, 0, v10
	v_xor_b32_e32 v19, s4, v21
	v_dual_cndmask_b32 v10, v17, v11 :: v_dual_cndmask_b32 v11, v16, v18
	s_delay_alu instid0(VALU_DEP_1) | instskip(NEXT) | instid1(VALU_DEP_2)
	v_xor_b32_e32 v16, v10, v19
	v_xor_b32_e32 v11, v11, v19
	s_delay_alu instid0(VALU_DEP_1) | instskip(NEXT) | instid1(VALU_DEP_3)
	v_sub_co_u32 v10, vcc_lo, v11, v19
	v_sub_co_ci_u32_e32 v11, vcc_lo, v16, v19, vcc_lo
.LBB23_23:
	s_and_not1_saveexec_b32 s2, s3
	s_cbranch_execz .LBB23_25
; %bb.24:
	v_cvt_f32_u32_e32 v10, s40
	s_sub_i32 s3, 0, s40
	s_delay_alu instid0(VALU_DEP_1) | instskip(SKIP_2) | instid1(VALU_DEP_1)
	v_rcp_iflag_f32_e32 v10, v10
	s_waitcnt_depctr 0xfff
	v_mul_f32_e32 v10, 0x4f7ffffe, v10
	v_cvt_u32_f32_e32 v10, v10
	s_delay_alu instid0(VALU_DEP_1) | instskip(NEXT) | instid1(VALU_DEP_1)
	v_mul_lo_u32 v11, s3, v10
	v_mul_hi_u32 v11, v10, v11
	s_delay_alu instid0(VALU_DEP_1) | instskip(NEXT) | instid1(VALU_DEP_1)
	v_add_nc_u32_e32 v10, v10, v11
	v_mul_hi_u32 v10, v14, v10
	s_delay_alu instid0(VALU_DEP_1) | instskip(SKIP_1) | instid1(VALU_DEP_2)
	v_mul_lo_u32 v11, v10, s40
	v_add_nc_u32_e32 v16, 1, v10
	v_sub_nc_u32_e32 v11, v14, v11
	s_delay_alu instid0(VALU_DEP_1) | instskip(SKIP_1) | instid1(VALU_DEP_2)
	v_subrev_nc_u32_e32 v17, s40, v11
	v_cmp_le_u32_e32 vcc_lo, s40, v11
	v_dual_cndmask_b32 v11, v11, v17 :: v_dual_cndmask_b32 v10, v10, v16
	s_delay_alu instid0(VALU_DEP_1) | instskip(NEXT) | instid1(VALU_DEP_2)
	v_cmp_le_u32_e32 vcc_lo, s40, v11
	v_dual_mov_b32 v11, 0 :: v_dual_add_nc_u32 v16, 1, v10
	s_delay_alu instid0(VALU_DEP_1)
	v_cndmask_b32_e32 v10, v10, v16, vcc_lo
.LBB23_25:
	s_or_b32 exec_lo, exec_lo, s2
	v_mul_lo_u32 v18, v7, s22
	v_mul_lo_u32 v19, v6, s23
	v_mad_u64_u32 v[16:17], null, v6, s22, 0
	v_mul_lo_u32 v7, v7, s30
	v_mul_lo_u32 v3, v3, s36
	s_load_b64 s[0:1], s[0:1], 0x80
	s_delay_alu instid0(VALU_DEP_3) | instskip(NEXT) | instid1(VALU_DEP_4)
	v_add3_u32 v17, v17, v19, v18
	v_sub_co_u32 v16, vcc_lo, v12, v16
	s_delay_alu instid0(VALU_DEP_2) | instskip(NEXT) | instid1(VALU_DEP_2)
	v_sub_co_ci_u32_e32 v17, vcc_lo, v13, v17, vcc_lo
	v_mul_lo_u32 v18, v16, s29
	v_mad_u64_u32 v[12:13], null, v16, s28, s[16:17]
	s_delay_alu instid0(VALU_DEP_3) | instskip(NEXT) | instid1(VALU_DEP_1)
	v_mul_lo_u32 v16, v17, s28
	v_add3_u32 v13, v16, v13, v18
	v_mul_lo_u32 v18, v6, s31
	s_delay_alu instid0(VALU_DEP_2) | instskip(SKIP_1) | instid1(VALU_DEP_2)
	v_mad_u64_u32 v[16:17], null, v6, s30, v[12:13]
	v_mul_lo_u32 v12, v2, s37
	v_add3_u32 v17, v7, v17, v18
	s_delay_alu instid0(VALU_DEP_1) | instskip(NEXT) | instid1(VALU_DEP_1)
	v_mad_u64_u32 v[6:7], null, v2, s36, v[16:17]
	v_add3_u32 v7, v3, v7, v12
	v_mul_lo_u32 v12, v0, s39
	s_delay_alu instid0(VALU_DEP_2) | instskip(SKIP_1) | instid1(VALU_DEP_1)
	v_mad_u64_u32 v[2:3], null, v0, s38, v[6:7]
	v_mul_lo_u32 v0, v1, s38
	v_add3_u32 v3, v0, v3, v12
	v_mad_u64_u32 v[0:1], null, v10, s40, 0
	global_load_u16 v6, v[2:3], off
	v_mul_lo_u32 v2, v11, s40
	v_mul_lo_u32 v3, v10, s41
	s_delay_alu instid0(VALU_DEP_1) | instskip(SKIP_1) | instid1(VALU_DEP_2)
	v_add3_u32 v1, v1, v3, v2
	v_sub_co_u32 v2, vcc_lo, v14, v0
	v_sub_co_ci_u32_e32 v0, vcc_lo, v15, v1, vcc_lo
	s_delay_alu instid0(VALU_DEP_2) | instskip(NEXT) | instid1(VALU_DEP_2)
	v_mul_lo_u32 v3, v2, s47
	v_mul_lo_u32 v7, v0, s46
	v_mad_u64_u32 v[0:1], null, v2, s46, s[18:19]
	s_delay_alu instid0(VALU_DEP_1) | instskip(NEXT) | instid1(VALU_DEP_1)
	v_add3_u32 v1, v7, v1, v3
	v_mad_u64_u32 v[2:3], null, v10, s48, v[0:1]
	v_mul_lo_u32 v0, v10, s49
	v_mul_lo_u32 v1, v11, s48
	s_delay_alu instid0(VALU_DEP_1) | instskip(NEXT) | instid1(VALU_DEP_1)
	v_add3_u32 v3, v1, v3, v0
	v_mad_u64_u32 v[0:1], null, v4, s50, v[2:3]
	v_mul_lo_u32 v2, v4, s51
	v_mul_lo_u32 v3, v5, s50
	s_delay_alu instid0(VALU_DEP_1) | instskip(SKIP_1) | instid1(VALU_DEP_1)
	v_add3_u32 v1, v3, v1, v2
	s_waitcnt lgkmcnt(0)
	v_mad_u64_u32 v[2:3], null, v8, s0, v[0:1]
	v_mul_lo_u32 v0, v8, s1
	v_mul_lo_u32 v1, v9, s0
	s_delay_alu instid0(VALU_DEP_1)
	v_add3_u32 v3, v1, v3, v0
	s_waitcnt vmcnt(0)
	v_cvt_f32_f16_e32 v0, v6
	global_store_b32 v[2:3], v0, off
.LBB23_26:
	s_nop 0
	s_sendmsg sendmsg(MSG_DEALLOC_VGPRS)
	s_endpgm
	.section	.rodata,"a",@progbits
	.p2align	6, 0x0
	.amdhsa_kernel _ZL10cpy_scalarIXadL_ZL12cpy_1_scalarI6__halffEvPKcPcEEEvS3_S4_lllllllllllllll
		.amdhsa_group_segment_fixed_size 0
		.amdhsa_private_segment_fixed_size 0
		.amdhsa_kernarg_size 392
		.amdhsa_user_sgpr_count 15
		.amdhsa_user_sgpr_dispatch_ptr 0
		.amdhsa_user_sgpr_queue_ptr 0
		.amdhsa_user_sgpr_kernarg_segment_ptr 1
		.amdhsa_user_sgpr_dispatch_id 0
		.amdhsa_user_sgpr_private_segment_size 0
		.amdhsa_wavefront_size32 1
		.amdhsa_uses_dynamic_stack 0
		.amdhsa_enable_private_segment 0
		.amdhsa_system_sgpr_workgroup_id_x 1
		.amdhsa_system_sgpr_workgroup_id_y 0
		.amdhsa_system_sgpr_workgroup_id_z 0
		.amdhsa_system_sgpr_workgroup_info 0
		.amdhsa_system_vgpr_workitem_id 0
		.amdhsa_next_free_vgpr 25
		.amdhsa_next_free_sgpr 52
		.amdhsa_reserve_vcc 1
		.amdhsa_float_round_mode_32 0
		.amdhsa_float_round_mode_16_64 0
		.amdhsa_float_denorm_mode_32 3
		.amdhsa_float_denorm_mode_16_64 3
		.amdhsa_dx10_clamp 1
		.amdhsa_ieee_mode 1
		.amdhsa_fp16_overflow 0
		.amdhsa_workgroup_processor_mode 1
		.amdhsa_memory_ordered 1
		.amdhsa_forward_progress 0
		.amdhsa_shared_vgpr_count 0
		.amdhsa_exception_fp_ieee_invalid_op 0
		.amdhsa_exception_fp_denorm_src 0
		.amdhsa_exception_fp_ieee_div_zero 0
		.amdhsa_exception_fp_ieee_overflow 0
		.amdhsa_exception_fp_ieee_underflow 0
		.amdhsa_exception_fp_ieee_inexact 0
		.amdhsa_exception_int_div_zero 0
	.end_amdhsa_kernel
	.section	.text._ZL10cpy_scalarIXadL_ZL12cpy_1_scalarI6__halffEvPKcPcEEEvS3_S4_lllllllllllllll,"axG",@progbits,_ZL10cpy_scalarIXadL_ZL12cpy_1_scalarI6__halffEvPKcPcEEEvS3_S4_lllllllllllllll,comdat
.Lfunc_end23:
	.size	_ZL10cpy_scalarIXadL_ZL12cpy_1_scalarI6__halffEvPKcPcEEEvS3_S4_lllllllllllllll, .Lfunc_end23-_ZL10cpy_scalarIXadL_ZL12cpy_1_scalarI6__halffEvPKcPcEEEvS3_S4_lllllllllllllll
                                        ; -- End function
	.section	.AMDGPU.csdata,"",@progbits
; Kernel info:
; codeLenInByte = 6832
; NumSgprs: 54
; NumVgprs: 25
; ScratchSize: 0
; MemoryBound: 0
; FloatMode: 240
; IeeeMode: 1
; LDSByteSize: 0 bytes/workgroup (compile time only)
; SGPRBlocks: 6
; VGPRBlocks: 3
; NumSGPRsForWavesPerEU: 54
; NumVGPRsForWavesPerEU: 25
; Occupancy: 16
; WaveLimiterHint : 0
; COMPUTE_PGM_RSRC2:SCRATCH_EN: 0
; COMPUTE_PGM_RSRC2:USER_SGPR: 15
; COMPUTE_PGM_RSRC2:TRAP_HANDLER: 0
; COMPUTE_PGM_RSRC2:TGID_X_EN: 1
; COMPUTE_PGM_RSRC2:TGID_Y_EN: 0
; COMPUTE_PGM_RSRC2:TGID_Z_EN: 0
; COMPUTE_PGM_RSRC2:TIDIG_COMP_CNT: 0
	.section	.text._ZL10cpy_scalarIXadL_ZL12cpy_1_scalarI14__hip_bfloat16S1_EvPKcPcEEEvS3_S4_lllllllllllllll,"axG",@progbits,_ZL10cpy_scalarIXadL_ZL12cpy_1_scalarI14__hip_bfloat16S1_EvPKcPcEEEvS3_S4_lllllllllllllll,comdat
	.globl	_ZL10cpy_scalarIXadL_ZL12cpy_1_scalarI14__hip_bfloat16S1_EvPKcPcEEEvS3_S4_lllllllllllllll ; -- Begin function _ZL10cpy_scalarIXadL_ZL12cpy_1_scalarI14__hip_bfloat16S1_EvPKcPcEEEvS3_S4_lllllllllllllll
	.p2align	8
	.type	_ZL10cpy_scalarIXadL_ZL12cpy_1_scalarI14__hip_bfloat16S1_EvPKcPcEEEvS3_S4_lllllllllllllll,@function
_ZL10cpy_scalarIXadL_ZL12cpy_1_scalarI14__hip_bfloat16S1_EvPKcPcEEEvS3_S4_lllllllllllllll: ; @_ZL10cpy_scalarIXadL_ZL12cpy_1_scalarI14__hip_bfloat16S1_EvPKcPcEEEvS3_S4_lllllllllllllll
; %bb.0:
	s_clause 0x1
	s_load_b32 s2, s[0:1], 0x94
	s_load_b512 s[16:31], s[0:1], 0x0
	v_mov_b32_e32 v2, 0
	s_delay_alu instid0(VALU_DEP_1)
	v_mov_b32_e32 v1, v2
	s_waitcnt lgkmcnt(0)
	s_and_b32 s2, s2, 0xffff
	s_delay_alu instid0(VALU_DEP_1) | instid1(SALU_CYCLE_1)
	v_mad_u64_u32 v[4:5], null, s2, s15, v[0:1]
	s_mov_b32 s2, exec_lo
	s_delay_alu instid0(VALU_DEP_1)
	v_cmpx_gt_i64_e64 s[20:21], v[4:5]
	s_cbranch_execz .LBB24_26
; %bb.1:
	s_mul_i32 s2, s24, s23
	s_mul_hi_u32 s3, s24, s22
	v_ashrrev_i32_e32 v10, 31, v5
	s_add_i32 s8, s3, s2
	s_mul_i32 s3, s24, s22
	s_mul_i32 s2, s25, s22
	;; [unrolled: 1-line block ×3, first 2 shown]
	s_mul_hi_u32 s5, s3, s26
	s_add_i32 s8, s8, s2
	s_add_i32 s2, s5, s4
	s_mul_i32 s4, s8, s26
	s_mul_i32 s10, s3, s26
	s_add_i32 s9, s2, s4
                                        ; implicit-def: $vgpr0_vgpr1
	s_mov_b32 s2, exec_lo
	v_or_b32_e32 v3, s9, v5
	s_delay_alu instid0(VALU_DEP_1)
	v_cmpx_ne_u64_e32 0, v[2:3]
	s_xor_b32 s11, exec_lo, s2
	s_cbranch_execz .LBB24_3
; %bb.2:
	s_ashr_i32 s4, s9, 31
	s_delay_alu instid0(SALU_CYCLE_1) | instskip(SKIP_2) | instid1(SALU_CYCLE_1)
	s_add_u32 s6, s10, s4
	s_mov_b32 s5, s4
	s_addc_u32 s7, s9, s4
	s_xor_b64 s[6:7], s[6:7], s[4:5]
	s_delay_alu instid0(SALU_CYCLE_1) | instskip(SKIP_3) | instid1(VALU_DEP_1)
	v_cvt_f32_u32_e32 v0, s6
	v_cvt_f32_u32_e32 v1, s7
	s_sub_u32 s2, 0, s6
	s_subb_u32 s5, 0, s7
	v_fmamk_f32 v0, v1, 0x4f800000, v0
	s_delay_alu instid0(VALU_DEP_1) | instskip(SKIP_2) | instid1(VALU_DEP_1)
	v_rcp_f32_e32 v0, v0
	s_waitcnt_depctr 0xfff
	v_mul_f32_e32 v0, 0x5f7ffffc, v0
	v_mul_f32_e32 v1, 0x2f800000, v0
	s_delay_alu instid0(VALU_DEP_1) | instskip(NEXT) | instid1(VALU_DEP_1)
	v_trunc_f32_e32 v1, v1
	v_fmamk_f32 v0, v1, 0xcf800000, v0
	v_cvt_u32_f32_e32 v1, v1
	s_delay_alu instid0(VALU_DEP_2) | instskip(NEXT) | instid1(VALU_DEP_2)
	v_cvt_u32_f32_e32 v0, v0
	v_mul_lo_u32 v2, s2, v1
	s_delay_alu instid0(VALU_DEP_2) | instskip(SKIP_1) | instid1(VALU_DEP_2)
	v_mul_hi_u32 v3, s2, v0
	v_mul_lo_u32 v6, s5, v0
	v_add_nc_u32_e32 v2, v3, v2
	v_mul_lo_u32 v3, s2, v0
	s_delay_alu instid0(VALU_DEP_2) | instskip(NEXT) | instid1(VALU_DEP_2)
	v_add_nc_u32_e32 v2, v2, v6
	v_mul_hi_u32 v6, v0, v3
	s_delay_alu instid0(VALU_DEP_2)
	v_mul_lo_u32 v7, v0, v2
	v_mul_hi_u32 v8, v0, v2
	v_mul_hi_u32 v9, v1, v3
	v_mul_lo_u32 v3, v1, v3
	v_mul_hi_u32 v11, v1, v2
	v_mul_lo_u32 v2, v1, v2
	v_add_co_u32 v6, vcc_lo, v6, v7
	v_add_co_ci_u32_e32 v7, vcc_lo, 0, v8, vcc_lo
	s_delay_alu instid0(VALU_DEP_2) | instskip(NEXT) | instid1(VALU_DEP_2)
	v_add_co_u32 v3, vcc_lo, v6, v3
	v_add_co_ci_u32_e32 v3, vcc_lo, v7, v9, vcc_lo
	v_add_co_ci_u32_e32 v6, vcc_lo, 0, v11, vcc_lo
	s_delay_alu instid0(VALU_DEP_2) | instskip(NEXT) | instid1(VALU_DEP_2)
	v_add_co_u32 v2, vcc_lo, v3, v2
	v_add_co_ci_u32_e32 v3, vcc_lo, 0, v6, vcc_lo
	s_delay_alu instid0(VALU_DEP_2) | instskip(NEXT) | instid1(VALU_DEP_2)
	v_add_co_u32 v0, vcc_lo, v0, v2
	v_add_co_ci_u32_e32 v1, vcc_lo, v1, v3, vcc_lo
	s_delay_alu instid0(VALU_DEP_2) | instskip(SKIP_1) | instid1(VALU_DEP_3)
	v_mul_hi_u32 v2, s2, v0
	v_mul_lo_u32 v6, s5, v0
	v_mul_lo_u32 v3, s2, v1
	s_delay_alu instid0(VALU_DEP_1) | instskip(SKIP_1) | instid1(VALU_DEP_2)
	v_add_nc_u32_e32 v2, v2, v3
	v_mul_lo_u32 v3, s2, v0
	v_add_nc_u32_e32 v2, v2, v6
	s_delay_alu instid0(VALU_DEP_2) | instskip(NEXT) | instid1(VALU_DEP_2)
	v_mul_hi_u32 v6, v0, v3
	v_mul_lo_u32 v7, v0, v2
	v_mul_hi_u32 v8, v0, v2
	v_mul_hi_u32 v9, v1, v3
	v_mul_lo_u32 v3, v1, v3
	v_mul_hi_u32 v11, v1, v2
	v_mul_lo_u32 v2, v1, v2
	v_add_co_u32 v6, vcc_lo, v6, v7
	v_add_co_ci_u32_e32 v7, vcc_lo, 0, v8, vcc_lo
	s_delay_alu instid0(VALU_DEP_2) | instskip(NEXT) | instid1(VALU_DEP_2)
	v_add_co_u32 v3, vcc_lo, v6, v3
	v_add_co_ci_u32_e32 v3, vcc_lo, v7, v9, vcc_lo
	v_add_co_ci_u32_e32 v6, vcc_lo, 0, v11, vcc_lo
	v_add_co_u32 v7, vcc_lo, v4, v10
	v_add_co_ci_u32_e32 v8, vcc_lo, v5, v10, vcc_lo
	s_delay_alu instid0(VALU_DEP_4) | instskip(NEXT) | instid1(VALU_DEP_4)
	v_add_co_u32 v2, vcc_lo, v3, v2
	v_add_co_ci_u32_e32 v3, vcc_lo, 0, v6, vcc_lo
	s_delay_alu instid0(VALU_DEP_4) | instskip(NEXT) | instid1(VALU_DEP_3)
	v_xor_b32_e32 v9, v7, v10
	v_add_co_u32 v6, vcc_lo, v0, v2
	s_delay_alu instid0(VALU_DEP_3) | instskip(SKIP_1) | instid1(VALU_DEP_3)
	v_add_co_ci_u32_e32 v11, vcc_lo, v1, v3, vcc_lo
	v_xor_b32_e32 v8, v8, v10
	v_mul_hi_u32 v12, v9, v6
	s_delay_alu instid0(VALU_DEP_3) | instskip(NEXT) | instid1(VALU_DEP_3)
	v_mad_u64_u32 v[0:1], null, v9, v11, 0
	v_mad_u64_u32 v[2:3], null, v8, v6, 0
	;; [unrolled: 1-line block ×3, first 2 shown]
	s_delay_alu instid0(VALU_DEP_3) | instskip(NEXT) | instid1(VALU_DEP_4)
	v_add_co_u32 v0, vcc_lo, v12, v0
	v_add_co_ci_u32_e32 v1, vcc_lo, 0, v1, vcc_lo
	s_delay_alu instid0(VALU_DEP_2) | instskip(NEXT) | instid1(VALU_DEP_2)
	v_add_co_u32 v0, vcc_lo, v0, v2
	v_add_co_ci_u32_e32 v0, vcc_lo, v1, v3, vcc_lo
	v_add_co_ci_u32_e32 v1, vcc_lo, 0, v7, vcc_lo
	s_delay_alu instid0(VALU_DEP_2) | instskip(NEXT) | instid1(VALU_DEP_2)
	v_add_co_u32 v2, vcc_lo, v0, v6
	v_add_co_ci_u32_e32 v3, vcc_lo, 0, v1, vcc_lo
	s_delay_alu instid0(VALU_DEP_2) | instskip(SKIP_1) | instid1(VALU_DEP_3)
	v_mul_lo_u32 v6, s7, v2
	v_mad_u64_u32 v[0:1], null, s6, v2, 0
	v_mul_lo_u32 v7, s6, v3
	s_delay_alu instid0(VALU_DEP_2) | instskip(NEXT) | instid1(VALU_DEP_2)
	v_sub_co_u32 v0, vcc_lo, v9, v0
	v_add3_u32 v1, v1, v7, v6
	s_delay_alu instid0(VALU_DEP_1) | instskip(NEXT) | instid1(VALU_DEP_1)
	v_sub_nc_u32_e32 v6, v8, v1
	v_subrev_co_ci_u32_e64 v6, s2, s7, v6, vcc_lo
	v_add_co_u32 v7, s2, v2, 2
	s_delay_alu instid0(VALU_DEP_1) | instskip(SKIP_3) | instid1(VALU_DEP_3)
	v_add_co_ci_u32_e64 v9, s2, 0, v3, s2
	v_sub_co_u32 v11, s2, v0, s6
	v_sub_co_ci_u32_e32 v1, vcc_lo, v8, v1, vcc_lo
	v_subrev_co_ci_u32_e64 v6, s2, 0, v6, s2
	v_cmp_le_u32_e32 vcc_lo, s6, v11
	s_delay_alu instid0(VALU_DEP_3) | instskip(SKIP_1) | instid1(VALU_DEP_4)
	v_cmp_eq_u32_e64 s2, s7, v1
	v_cndmask_b32_e64 v8, 0, -1, vcc_lo
	v_cmp_le_u32_e32 vcc_lo, s7, v6
	v_cndmask_b32_e64 v11, 0, -1, vcc_lo
	v_cmp_le_u32_e32 vcc_lo, s6, v0
	;; [unrolled: 2-line block ×3, first 2 shown]
	v_cndmask_b32_e64 v12, 0, -1, vcc_lo
	v_cmp_eq_u32_e32 vcc_lo, s7, v6
	s_delay_alu instid0(VALU_DEP_2) | instskip(SKIP_3) | instid1(VALU_DEP_3)
	v_cndmask_b32_e64 v0, v12, v0, s2
	v_cndmask_b32_e32 v6, v11, v8, vcc_lo
	v_add_co_u32 v8, vcc_lo, v2, 1
	v_add_co_ci_u32_e32 v11, vcc_lo, 0, v3, vcc_lo
	v_cmp_ne_u32_e32 vcc_lo, 0, v6
	s_delay_alu instid0(VALU_DEP_2) | instskip(SKIP_2) | instid1(VALU_DEP_3)
	v_dual_cndmask_b32 v1, v11, v9 :: v_dual_cndmask_b32 v6, v8, v7
	v_cmp_ne_u32_e32 vcc_lo, 0, v0
	v_xor_b32_e32 v7, s4, v10
	v_dual_cndmask_b32 v0, v3, v1 :: v_dual_cndmask_b32 v1, v2, v6
	s_delay_alu instid0(VALU_DEP_1) | instskip(NEXT) | instid1(VALU_DEP_2)
	v_xor_b32_e32 v2, v0, v7
	v_xor_b32_e32 v1, v1, v7
	s_delay_alu instid0(VALU_DEP_1) | instskip(NEXT) | instid1(VALU_DEP_3)
	v_sub_co_u32 v0, vcc_lo, v1, v7
	v_sub_co_ci_u32_e32 v1, vcc_lo, v2, v7, vcc_lo
.LBB24_3:
	s_and_not1_saveexec_b32 s2, s11
	s_cbranch_execz .LBB24_5
; %bb.4:
	v_cvt_f32_u32_e32 v0, s10
	s_sub_i32 s4, 0, s10
	s_delay_alu instid0(VALU_DEP_1) | instskip(SKIP_2) | instid1(VALU_DEP_1)
	v_rcp_iflag_f32_e32 v0, v0
	s_waitcnt_depctr 0xfff
	v_mul_f32_e32 v0, 0x4f7ffffe, v0
	v_cvt_u32_f32_e32 v0, v0
	s_delay_alu instid0(VALU_DEP_1) | instskip(NEXT) | instid1(VALU_DEP_1)
	v_mul_lo_u32 v1, s4, v0
	v_mul_hi_u32 v1, v0, v1
	s_delay_alu instid0(VALU_DEP_1) | instskip(NEXT) | instid1(VALU_DEP_1)
	v_add_nc_u32_e32 v0, v0, v1
	v_mul_hi_u32 v0, v4, v0
	s_delay_alu instid0(VALU_DEP_1) | instskip(SKIP_1) | instid1(VALU_DEP_2)
	v_mul_lo_u32 v1, v0, s10
	v_add_nc_u32_e32 v2, 1, v0
	v_sub_nc_u32_e32 v1, v4, v1
	s_delay_alu instid0(VALU_DEP_1) | instskip(SKIP_1) | instid1(VALU_DEP_2)
	v_subrev_nc_u32_e32 v3, s10, v1
	v_cmp_le_u32_e32 vcc_lo, s10, v1
	v_dual_cndmask_b32 v1, v1, v3 :: v_dual_cndmask_b32 v0, v0, v2
	s_delay_alu instid0(VALU_DEP_1) | instskip(NEXT) | instid1(VALU_DEP_2)
	v_cmp_le_u32_e32 vcc_lo, s10, v1
	v_dual_mov_b32 v1, 0 :: v_dual_add_nc_u32 v2, 1, v0
	s_delay_alu instid0(VALU_DEP_1)
	v_cndmask_b32_e32 v0, v0, v2, vcc_lo
.LBB24_5:
	s_or_b32 exec_lo, exec_lo, s2
	s_delay_alu instid0(VALU_DEP_1) | instskip(NEXT) | instid1(VALU_DEP_2)
	v_mul_lo_u32 v6, s9, v0
	v_mul_lo_u32 v7, s10, v1
	v_mad_u64_u32 v[2:3], null, s10, v0, 0
	s_delay_alu instid0(VALU_DEP_1) | instskip(NEXT) | instid1(VALU_DEP_2)
	v_add3_u32 v3, v3, v7, v6
	v_sub_co_u32 v6, vcc_lo, v4, v2
	v_mov_b32_e32 v2, 0
	s_delay_alu instid0(VALU_DEP_3) | instskip(NEXT) | instid1(VALU_DEP_1)
	v_sub_co_ci_u32_e32 v7, vcc_lo, v5, v3, vcc_lo
	v_or_b32_e32 v3, s8, v7
	s_delay_alu instid0(VALU_DEP_1) | instskip(SKIP_1) | instid1(SALU_CYCLE_1)
	v_cmp_ne_u64_e32 vcc_lo, 0, v[2:3]
                                        ; implicit-def: $vgpr2_vgpr3
	s_and_saveexec_b32 s2, vcc_lo
	s_xor_b32 s9, exec_lo, s2
	s_cbranch_execz .LBB24_7
; %bb.6:
	s_ashr_i32 s4, s8, 31
	s_delay_alu instid0(SALU_CYCLE_1) | instskip(SKIP_2) | instid1(SALU_CYCLE_1)
	s_add_u32 s6, s3, s4
	s_mov_b32 s5, s4
	s_addc_u32 s7, s8, s4
	s_xor_b64 s[6:7], s[6:7], s[4:5]
	s_delay_alu instid0(SALU_CYCLE_1) | instskip(SKIP_3) | instid1(VALU_DEP_1)
	v_cvt_f32_u32_e32 v2, s6
	v_cvt_f32_u32_e32 v3, s7
	s_sub_u32 s2, 0, s6
	s_subb_u32 s5, 0, s7
	v_fmamk_f32 v2, v3, 0x4f800000, v2
	s_delay_alu instid0(VALU_DEP_1) | instskip(SKIP_2) | instid1(VALU_DEP_1)
	v_rcp_f32_e32 v2, v2
	s_waitcnt_depctr 0xfff
	v_mul_f32_e32 v2, 0x5f7ffffc, v2
	v_mul_f32_e32 v3, 0x2f800000, v2
	s_delay_alu instid0(VALU_DEP_1) | instskip(NEXT) | instid1(VALU_DEP_1)
	v_trunc_f32_e32 v3, v3
	v_fmamk_f32 v2, v3, 0xcf800000, v2
	v_cvt_u32_f32_e32 v3, v3
	s_delay_alu instid0(VALU_DEP_2) | instskip(NEXT) | instid1(VALU_DEP_2)
	v_cvt_u32_f32_e32 v2, v2
	v_mul_lo_u32 v8, s2, v3
	s_delay_alu instid0(VALU_DEP_2) | instskip(SKIP_1) | instid1(VALU_DEP_2)
	v_mul_hi_u32 v9, s2, v2
	v_mul_lo_u32 v11, s5, v2
	v_add_nc_u32_e32 v8, v9, v8
	v_mul_lo_u32 v9, s2, v2
	s_delay_alu instid0(VALU_DEP_2) | instskip(NEXT) | instid1(VALU_DEP_2)
	v_add_nc_u32_e32 v8, v8, v11
	v_mul_hi_u32 v11, v2, v9
	s_delay_alu instid0(VALU_DEP_2)
	v_mul_lo_u32 v12, v2, v8
	v_mul_hi_u32 v13, v2, v8
	v_mul_hi_u32 v14, v3, v9
	v_mul_lo_u32 v9, v3, v9
	v_mul_hi_u32 v15, v3, v8
	v_mul_lo_u32 v8, v3, v8
	v_add_co_u32 v11, vcc_lo, v11, v12
	v_add_co_ci_u32_e32 v12, vcc_lo, 0, v13, vcc_lo
	s_delay_alu instid0(VALU_DEP_2) | instskip(NEXT) | instid1(VALU_DEP_2)
	v_add_co_u32 v9, vcc_lo, v11, v9
	v_add_co_ci_u32_e32 v9, vcc_lo, v12, v14, vcc_lo
	v_add_co_ci_u32_e32 v11, vcc_lo, 0, v15, vcc_lo
	v_ashrrev_i32_e32 v14, 31, v7
	s_delay_alu instid0(VALU_DEP_3) | instskip(NEXT) | instid1(VALU_DEP_3)
	v_add_co_u32 v8, vcc_lo, v9, v8
	v_add_co_ci_u32_e32 v9, vcc_lo, 0, v11, vcc_lo
	s_delay_alu instid0(VALU_DEP_2) | instskip(NEXT) | instid1(VALU_DEP_2)
	v_add_co_u32 v2, vcc_lo, v2, v8
	v_add_co_ci_u32_e32 v3, vcc_lo, v3, v9, vcc_lo
	s_delay_alu instid0(VALU_DEP_2) | instskip(SKIP_1) | instid1(VALU_DEP_3)
	v_mul_hi_u32 v8, s2, v2
	v_mul_lo_u32 v11, s5, v2
	v_mul_lo_u32 v9, s2, v3
	s_delay_alu instid0(VALU_DEP_1) | instskip(SKIP_1) | instid1(VALU_DEP_2)
	v_add_nc_u32_e32 v8, v8, v9
	v_mul_lo_u32 v9, s2, v2
	v_add_nc_u32_e32 v8, v8, v11
	s_delay_alu instid0(VALU_DEP_2) | instskip(NEXT) | instid1(VALU_DEP_2)
	v_mul_hi_u32 v11, v2, v9
	v_mul_lo_u32 v12, v2, v8
	v_mul_hi_u32 v13, v2, v8
	v_mul_hi_u32 v15, v3, v9
	v_mul_lo_u32 v9, v3, v9
	v_mul_hi_u32 v16, v3, v8
	v_mul_lo_u32 v8, v3, v8
	v_add_co_u32 v11, vcc_lo, v11, v12
	v_add_co_ci_u32_e32 v12, vcc_lo, 0, v13, vcc_lo
	s_delay_alu instid0(VALU_DEP_2) | instskip(NEXT) | instid1(VALU_DEP_2)
	v_add_co_u32 v9, vcc_lo, v11, v9
	v_add_co_ci_u32_e32 v9, vcc_lo, v12, v15, vcc_lo
	v_add_co_ci_u32_e32 v11, vcc_lo, 0, v16, vcc_lo
	v_add_co_u32 v12, vcc_lo, v6, v14
	v_add_co_ci_u32_e32 v13, vcc_lo, v7, v14, vcc_lo
	s_delay_alu instid0(VALU_DEP_4) | instskip(NEXT) | instid1(VALU_DEP_4)
	v_add_co_u32 v8, vcc_lo, v9, v8
	v_add_co_ci_u32_e32 v9, vcc_lo, 0, v11, vcc_lo
	s_delay_alu instid0(VALU_DEP_4) | instskip(NEXT) | instid1(VALU_DEP_3)
	v_xor_b32_e32 v15, v12, v14
	v_add_co_u32 v11, vcc_lo, v2, v8
	s_delay_alu instid0(VALU_DEP_3) | instskip(SKIP_1) | instid1(VALU_DEP_3)
	v_add_co_ci_u32_e32 v16, vcc_lo, v3, v9, vcc_lo
	v_xor_b32_e32 v13, v13, v14
	v_mul_hi_u32 v17, v15, v11
	s_delay_alu instid0(VALU_DEP_3) | instskip(NEXT) | instid1(VALU_DEP_3)
	v_mad_u64_u32 v[2:3], null, v15, v16, 0
	v_mad_u64_u32 v[8:9], null, v13, v11, 0
	;; [unrolled: 1-line block ×3, first 2 shown]
	s_delay_alu instid0(VALU_DEP_3) | instskip(NEXT) | instid1(VALU_DEP_4)
	v_add_co_u32 v2, vcc_lo, v17, v2
	v_add_co_ci_u32_e32 v3, vcc_lo, 0, v3, vcc_lo
	s_delay_alu instid0(VALU_DEP_2) | instskip(NEXT) | instid1(VALU_DEP_2)
	v_add_co_u32 v2, vcc_lo, v2, v8
	v_add_co_ci_u32_e32 v2, vcc_lo, v3, v9, vcc_lo
	v_add_co_ci_u32_e32 v3, vcc_lo, 0, v12, vcc_lo
	s_delay_alu instid0(VALU_DEP_2) | instskip(NEXT) | instid1(VALU_DEP_2)
	v_add_co_u32 v8, vcc_lo, v2, v11
	v_add_co_ci_u32_e32 v9, vcc_lo, 0, v3, vcc_lo
	s_delay_alu instid0(VALU_DEP_2) | instskip(SKIP_1) | instid1(VALU_DEP_3)
	v_mul_lo_u32 v11, s7, v8
	v_mad_u64_u32 v[2:3], null, s6, v8, 0
	v_mul_lo_u32 v12, s6, v9
	s_delay_alu instid0(VALU_DEP_2) | instskip(NEXT) | instid1(VALU_DEP_2)
	v_sub_co_u32 v2, vcc_lo, v15, v2
	v_add3_u32 v3, v3, v12, v11
	s_delay_alu instid0(VALU_DEP_1) | instskip(NEXT) | instid1(VALU_DEP_1)
	v_sub_nc_u32_e32 v11, v13, v3
	v_subrev_co_ci_u32_e64 v11, s2, s7, v11, vcc_lo
	v_add_co_u32 v12, s2, v8, 2
	s_delay_alu instid0(VALU_DEP_1) | instskip(SKIP_3) | instid1(VALU_DEP_3)
	v_add_co_ci_u32_e64 v15, s2, 0, v9, s2
	v_sub_co_u32 v16, s2, v2, s6
	v_sub_co_ci_u32_e32 v3, vcc_lo, v13, v3, vcc_lo
	v_subrev_co_ci_u32_e64 v11, s2, 0, v11, s2
	v_cmp_le_u32_e32 vcc_lo, s6, v16
	s_delay_alu instid0(VALU_DEP_3) | instskip(SKIP_1) | instid1(VALU_DEP_4)
	v_cmp_eq_u32_e64 s2, s7, v3
	v_cndmask_b32_e64 v13, 0, -1, vcc_lo
	v_cmp_le_u32_e32 vcc_lo, s7, v11
	v_cndmask_b32_e64 v16, 0, -1, vcc_lo
	v_cmp_le_u32_e32 vcc_lo, s6, v2
	;; [unrolled: 2-line block ×3, first 2 shown]
	v_cndmask_b32_e64 v17, 0, -1, vcc_lo
	v_cmp_eq_u32_e32 vcc_lo, s7, v11
	s_delay_alu instid0(VALU_DEP_2) | instskip(SKIP_3) | instid1(VALU_DEP_3)
	v_cndmask_b32_e64 v2, v17, v2, s2
	v_cndmask_b32_e32 v11, v16, v13, vcc_lo
	v_add_co_u32 v13, vcc_lo, v8, 1
	v_add_co_ci_u32_e32 v16, vcc_lo, 0, v9, vcc_lo
	v_cmp_ne_u32_e32 vcc_lo, 0, v11
	s_delay_alu instid0(VALU_DEP_3) | instskip(NEXT) | instid1(VALU_DEP_3)
	v_cndmask_b32_e32 v11, v13, v12, vcc_lo
	v_cndmask_b32_e32 v3, v16, v15, vcc_lo
	v_cmp_ne_u32_e32 vcc_lo, 0, v2
	v_xor_b32_e32 v12, s4, v14
	s_delay_alu instid0(VALU_DEP_3) | instskip(SKIP_1) | instid1(VALU_DEP_2)
	v_cndmask_b32_e32 v2, v9, v3, vcc_lo
	v_cndmask_b32_e32 v3, v8, v11, vcc_lo
	v_xor_b32_e32 v8, v2, v12
	s_delay_alu instid0(VALU_DEP_2) | instskip(NEXT) | instid1(VALU_DEP_1)
	v_xor_b32_e32 v3, v3, v12
	v_sub_co_u32 v2, vcc_lo, v3, v12
	s_delay_alu instid0(VALU_DEP_3)
	v_sub_co_ci_u32_e32 v3, vcc_lo, v8, v12, vcc_lo
.LBB24_7:
	s_and_not1_saveexec_b32 s2, s9
	s_cbranch_execz .LBB24_9
; %bb.8:
	v_cvt_f32_u32_e32 v2, s3
	s_sub_i32 s4, 0, s3
	s_delay_alu instid0(VALU_DEP_1) | instskip(SKIP_2) | instid1(VALU_DEP_1)
	v_rcp_iflag_f32_e32 v2, v2
	s_waitcnt_depctr 0xfff
	v_mul_f32_e32 v2, 0x4f7ffffe, v2
	v_cvt_u32_f32_e32 v2, v2
	s_delay_alu instid0(VALU_DEP_1) | instskip(NEXT) | instid1(VALU_DEP_1)
	v_mul_lo_u32 v3, s4, v2
	v_mul_hi_u32 v3, v2, v3
	s_delay_alu instid0(VALU_DEP_1) | instskip(NEXT) | instid1(VALU_DEP_1)
	v_add_nc_u32_e32 v2, v2, v3
	v_mul_hi_u32 v2, v6, v2
	s_delay_alu instid0(VALU_DEP_1) | instskip(SKIP_1) | instid1(VALU_DEP_2)
	v_mul_lo_u32 v3, v2, s3
	v_add_nc_u32_e32 v8, 1, v2
	v_sub_nc_u32_e32 v3, v6, v3
	s_delay_alu instid0(VALU_DEP_1) | instskip(SKIP_1) | instid1(VALU_DEP_2)
	v_subrev_nc_u32_e32 v9, s3, v3
	v_cmp_le_u32_e32 vcc_lo, s3, v3
	v_dual_cndmask_b32 v3, v3, v9 :: v_dual_cndmask_b32 v2, v2, v8
	s_delay_alu instid0(VALU_DEP_1) | instskip(NEXT) | instid1(VALU_DEP_2)
	v_cmp_le_u32_e32 vcc_lo, s3, v3
	v_dual_mov_b32 v3, 0 :: v_dual_add_nc_u32 v8, 1, v2
	s_delay_alu instid0(VALU_DEP_1)
	v_cndmask_b32_e32 v2, v2, v8, vcc_lo
.LBB24_9:
	s_or_b32 exec_lo, exec_lo, s2
	s_delay_alu instid0(VALU_DEP_1) | instskip(NEXT) | instid1(VALU_DEP_2)
	v_mul_lo_u32 v11, s8, v2
	v_mul_lo_u32 v12, s3, v3
	v_mad_u64_u32 v[8:9], null, s3, v2, 0
	s_delay_alu instid0(VALU_DEP_1) | instskip(NEXT) | instid1(VALU_DEP_2)
	v_add3_u32 v9, v9, v12, v11
	v_sub_co_u32 v12, vcc_lo, v6, v8
	v_mov_b32_e32 v6, 0
	s_delay_alu instid0(VALU_DEP_3) | instskip(NEXT) | instid1(VALU_DEP_1)
	v_sub_co_ci_u32_e32 v13, vcc_lo, v7, v9, vcc_lo
	v_or_b32_e32 v7, s23, v13
	s_delay_alu instid0(VALU_DEP_1) | instskip(SKIP_1) | instid1(SALU_CYCLE_1)
	v_cmp_ne_u64_e32 vcc_lo, 0, v[6:7]
                                        ; implicit-def: $vgpr6_vgpr7
	s_and_saveexec_b32 s2, vcc_lo
	s_xor_b32 s3, exec_lo, s2
	s_cbranch_execz .LBB24_11
; %bb.10:
	s_ashr_i32 s4, s23, 31
	s_delay_alu instid0(SALU_CYCLE_1) | instskip(SKIP_2) | instid1(SALU_CYCLE_1)
	s_add_u32 s6, s22, s4
	s_mov_b32 s5, s4
	s_addc_u32 s7, s23, s4
	s_xor_b64 s[6:7], s[6:7], s[4:5]
	s_delay_alu instid0(SALU_CYCLE_1) | instskip(SKIP_3) | instid1(VALU_DEP_1)
	v_cvt_f32_u32_e32 v6, s6
	v_cvt_f32_u32_e32 v7, s7
	s_sub_u32 s2, 0, s6
	s_subb_u32 s5, 0, s7
	v_fmamk_f32 v6, v7, 0x4f800000, v6
	s_delay_alu instid0(VALU_DEP_1) | instskip(SKIP_2) | instid1(VALU_DEP_1)
	v_rcp_f32_e32 v6, v6
	s_waitcnt_depctr 0xfff
	v_mul_f32_e32 v6, 0x5f7ffffc, v6
	v_mul_f32_e32 v7, 0x2f800000, v6
	s_delay_alu instid0(VALU_DEP_1) | instskip(NEXT) | instid1(VALU_DEP_1)
	v_trunc_f32_e32 v7, v7
	v_fmamk_f32 v6, v7, 0xcf800000, v6
	v_cvt_u32_f32_e32 v7, v7
	s_delay_alu instid0(VALU_DEP_2) | instskip(NEXT) | instid1(VALU_DEP_2)
	v_cvt_u32_f32_e32 v6, v6
	v_mul_lo_u32 v8, s2, v7
	s_delay_alu instid0(VALU_DEP_2) | instskip(SKIP_1) | instid1(VALU_DEP_2)
	v_mul_hi_u32 v9, s2, v6
	v_mul_lo_u32 v11, s5, v6
	v_add_nc_u32_e32 v8, v9, v8
	v_mul_lo_u32 v9, s2, v6
	s_delay_alu instid0(VALU_DEP_2) | instskip(NEXT) | instid1(VALU_DEP_2)
	v_add_nc_u32_e32 v8, v8, v11
	v_mul_hi_u32 v11, v6, v9
	s_delay_alu instid0(VALU_DEP_2)
	v_mul_lo_u32 v14, v6, v8
	v_mul_hi_u32 v15, v6, v8
	v_mul_hi_u32 v16, v7, v9
	v_mul_lo_u32 v9, v7, v9
	v_mul_hi_u32 v17, v7, v8
	v_mul_lo_u32 v8, v7, v8
	v_add_co_u32 v11, vcc_lo, v11, v14
	v_add_co_ci_u32_e32 v14, vcc_lo, 0, v15, vcc_lo
	s_delay_alu instid0(VALU_DEP_2) | instskip(NEXT) | instid1(VALU_DEP_2)
	v_add_co_u32 v9, vcc_lo, v11, v9
	v_add_co_ci_u32_e32 v9, vcc_lo, v14, v16, vcc_lo
	v_add_co_ci_u32_e32 v11, vcc_lo, 0, v17, vcc_lo
	v_ashrrev_i32_e32 v16, 31, v13
	s_delay_alu instid0(VALU_DEP_3) | instskip(NEXT) | instid1(VALU_DEP_3)
	v_add_co_u32 v8, vcc_lo, v9, v8
	v_add_co_ci_u32_e32 v9, vcc_lo, 0, v11, vcc_lo
	s_delay_alu instid0(VALU_DEP_2) | instskip(NEXT) | instid1(VALU_DEP_2)
	v_add_co_u32 v6, vcc_lo, v6, v8
	v_add_co_ci_u32_e32 v7, vcc_lo, v7, v9, vcc_lo
	s_delay_alu instid0(VALU_DEP_2) | instskip(SKIP_1) | instid1(VALU_DEP_3)
	v_mul_hi_u32 v8, s2, v6
	v_mul_lo_u32 v11, s5, v6
	v_mul_lo_u32 v9, s2, v7
	s_delay_alu instid0(VALU_DEP_1) | instskip(SKIP_1) | instid1(VALU_DEP_2)
	v_add_nc_u32_e32 v8, v8, v9
	v_mul_lo_u32 v9, s2, v6
	v_add_nc_u32_e32 v8, v8, v11
	s_delay_alu instid0(VALU_DEP_2) | instskip(NEXT) | instid1(VALU_DEP_2)
	v_mul_hi_u32 v11, v6, v9
	v_mul_lo_u32 v14, v6, v8
	v_mul_hi_u32 v15, v6, v8
	v_mul_hi_u32 v17, v7, v9
	v_mul_lo_u32 v9, v7, v9
	v_mul_hi_u32 v18, v7, v8
	v_mul_lo_u32 v8, v7, v8
	v_add_co_u32 v11, vcc_lo, v11, v14
	v_add_co_ci_u32_e32 v14, vcc_lo, 0, v15, vcc_lo
	s_delay_alu instid0(VALU_DEP_2) | instskip(NEXT) | instid1(VALU_DEP_2)
	v_add_co_u32 v9, vcc_lo, v11, v9
	v_add_co_ci_u32_e32 v9, vcc_lo, v14, v17, vcc_lo
	v_add_co_ci_u32_e32 v11, vcc_lo, 0, v18, vcc_lo
	v_add_co_u32 v14, vcc_lo, v12, v16
	v_add_co_ci_u32_e32 v15, vcc_lo, v13, v16, vcc_lo
	s_delay_alu instid0(VALU_DEP_4) | instskip(NEXT) | instid1(VALU_DEP_4)
	v_add_co_u32 v8, vcc_lo, v9, v8
	v_add_co_ci_u32_e32 v9, vcc_lo, 0, v11, vcc_lo
	s_delay_alu instid0(VALU_DEP_4) | instskip(NEXT) | instid1(VALU_DEP_3)
	v_xor_b32_e32 v11, v14, v16
	v_add_co_u32 v14, vcc_lo, v6, v8
	s_delay_alu instid0(VALU_DEP_3) | instskip(SKIP_1) | instid1(VALU_DEP_3)
	v_add_co_ci_u32_e32 v17, vcc_lo, v7, v9, vcc_lo
	v_xor_b32_e32 v18, v15, v16
	v_mul_hi_u32 v19, v11, v14
	s_delay_alu instid0(VALU_DEP_3) | instskip(NEXT) | instid1(VALU_DEP_3)
	v_mad_u64_u32 v[6:7], null, v11, v17, 0
	v_mad_u64_u32 v[8:9], null, v18, v14, 0
	;; [unrolled: 1-line block ×3, first 2 shown]
	s_delay_alu instid0(VALU_DEP_3) | instskip(NEXT) | instid1(VALU_DEP_4)
	v_add_co_u32 v6, vcc_lo, v19, v6
	v_add_co_ci_u32_e32 v7, vcc_lo, 0, v7, vcc_lo
	s_delay_alu instid0(VALU_DEP_2) | instskip(NEXT) | instid1(VALU_DEP_2)
	v_add_co_u32 v6, vcc_lo, v6, v8
	v_add_co_ci_u32_e32 v6, vcc_lo, v7, v9, vcc_lo
	v_add_co_ci_u32_e32 v7, vcc_lo, 0, v15, vcc_lo
	s_delay_alu instid0(VALU_DEP_2) | instskip(NEXT) | instid1(VALU_DEP_2)
	v_add_co_u32 v8, vcc_lo, v6, v14
	v_add_co_ci_u32_e32 v9, vcc_lo, 0, v7, vcc_lo
	s_delay_alu instid0(VALU_DEP_2) | instskip(SKIP_1) | instid1(VALU_DEP_3)
	v_mul_lo_u32 v14, s7, v8
	v_mad_u64_u32 v[6:7], null, s6, v8, 0
	v_mul_lo_u32 v15, s6, v9
	s_delay_alu instid0(VALU_DEP_2) | instskip(NEXT) | instid1(VALU_DEP_2)
	v_sub_co_u32 v6, vcc_lo, v11, v6
	v_add3_u32 v7, v7, v15, v14
	s_delay_alu instid0(VALU_DEP_1) | instskip(NEXT) | instid1(VALU_DEP_1)
	v_sub_nc_u32_e32 v14, v18, v7
	v_subrev_co_ci_u32_e64 v11, s2, s7, v14, vcc_lo
	v_add_co_u32 v14, s2, v8, 2
	s_delay_alu instid0(VALU_DEP_1) | instskip(SKIP_3) | instid1(VALU_DEP_3)
	v_add_co_ci_u32_e64 v15, s2, 0, v9, s2
	v_sub_co_u32 v17, s2, v6, s6
	v_sub_co_ci_u32_e32 v7, vcc_lo, v18, v7, vcc_lo
	v_subrev_co_ci_u32_e64 v11, s2, 0, v11, s2
	v_cmp_le_u32_e32 vcc_lo, s6, v17
	s_delay_alu instid0(VALU_DEP_3) | instskip(SKIP_1) | instid1(VALU_DEP_4)
	v_cmp_eq_u32_e64 s2, s7, v7
	v_cndmask_b32_e64 v17, 0, -1, vcc_lo
	v_cmp_le_u32_e32 vcc_lo, s7, v11
	v_cndmask_b32_e64 v18, 0, -1, vcc_lo
	v_cmp_le_u32_e32 vcc_lo, s6, v6
	;; [unrolled: 2-line block ×3, first 2 shown]
	v_cndmask_b32_e64 v19, 0, -1, vcc_lo
	v_cmp_eq_u32_e32 vcc_lo, s7, v11
	s_delay_alu instid0(VALU_DEP_2) | instskip(SKIP_3) | instid1(VALU_DEP_3)
	v_cndmask_b32_e64 v6, v19, v6, s2
	v_cndmask_b32_e32 v11, v18, v17, vcc_lo
	v_add_co_u32 v17, vcc_lo, v8, 1
	v_add_co_ci_u32_e32 v18, vcc_lo, 0, v9, vcc_lo
	v_cmp_ne_u32_e32 vcc_lo, 0, v11
	s_delay_alu instid0(VALU_DEP_3) | instskip(NEXT) | instid1(VALU_DEP_3)
	v_cndmask_b32_e32 v11, v17, v14, vcc_lo
	v_cndmask_b32_e32 v7, v18, v15, vcc_lo
	v_cmp_ne_u32_e32 vcc_lo, 0, v6
	v_xor_b32_e32 v14, s4, v16
	s_delay_alu instid0(VALU_DEP_3) | instskip(SKIP_1) | instid1(VALU_DEP_2)
	v_cndmask_b32_e32 v6, v9, v7, vcc_lo
	v_cndmask_b32_e32 v7, v8, v11, vcc_lo
	v_xor_b32_e32 v8, v6, v14
	s_delay_alu instid0(VALU_DEP_2) | instskip(NEXT) | instid1(VALU_DEP_1)
	v_xor_b32_e32 v7, v7, v14
	v_sub_co_u32 v6, vcc_lo, v7, v14
	s_delay_alu instid0(VALU_DEP_3)
	v_sub_co_ci_u32_e32 v7, vcc_lo, v8, v14, vcc_lo
.LBB24_11:
	s_and_not1_saveexec_b32 s2, s3
	s_cbranch_execz .LBB24_13
; %bb.12:
	v_cvt_f32_u32_e32 v6, s22
	s_sub_i32 s3, 0, s22
	s_delay_alu instid0(VALU_DEP_1) | instskip(SKIP_2) | instid1(VALU_DEP_1)
	v_rcp_iflag_f32_e32 v6, v6
	s_waitcnt_depctr 0xfff
	v_mul_f32_e32 v6, 0x4f7ffffe, v6
	v_cvt_u32_f32_e32 v6, v6
	s_delay_alu instid0(VALU_DEP_1) | instskip(NEXT) | instid1(VALU_DEP_1)
	v_mul_lo_u32 v7, s3, v6
	v_mul_hi_u32 v7, v6, v7
	s_delay_alu instid0(VALU_DEP_1) | instskip(NEXT) | instid1(VALU_DEP_1)
	v_add_nc_u32_e32 v6, v6, v7
	v_mul_hi_u32 v6, v12, v6
	s_delay_alu instid0(VALU_DEP_1) | instskip(SKIP_1) | instid1(VALU_DEP_2)
	v_mul_lo_u32 v7, v6, s22
	v_add_nc_u32_e32 v8, 1, v6
	v_sub_nc_u32_e32 v7, v12, v7
	s_delay_alu instid0(VALU_DEP_1) | instskip(SKIP_1) | instid1(VALU_DEP_2)
	v_subrev_nc_u32_e32 v9, s22, v7
	v_cmp_le_u32_e32 vcc_lo, s22, v7
	v_dual_cndmask_b32 v7, v7, v9 :: v_dual_cndmask_b32 v6, v6, v8
	s_delay_alu instid0(VALU_DEP_1) | instskip(NEXT) | instid1(VALU_DEP_2)
	v_cmp_le_u32_e32 vcc_lo, s22, v7
	v_dual_mov_b32 v7, 0 :: v_dual_add_nc_u32 v8, 1, v6
	s_delay_alu instid0(VALU_DEP_1)
	v_cndmask_b32_e32 v6, v6, v8, vcc_lo
.LBB24_13:
	s_or_b32 exec_lo, exec_lo, s2
	s_load_b512 s[36:51], s[0:1], 0x40
	v_mov_b32_e32 v8, 0
	s_waitcnt lgkmcnt(0)
	s_mul_i32 s2, s42, s41
	s_mul_hi_u32 s4, s42, s40
	s_mul_i32 s5, s43, s40
	s_mul_i32 s3, s42, s40
	s_add_i32 s8, s4, s2
	s_mul_i32 s2, s3, s45
	s_mul_hi_u32 s4, s3, s44
	s_add_i32 s8, s8, s5
	s_add_i32 s2, s4, s2
	s_mul_i32 s4, s8, s44
	s_mul_i32 s10, s3, s44
	s_add_i32 s9, s2, s4
	s_delay_alu instid0(SALU_CYCLE_1) | instskip(NEXT) | instid1(VALU_DEP_1)
	v_or_b32_e32 v9, s9, v5
	v_cmp_ne_u64_e32 vcc_lo, 0, v[8:9]
                                        ; implicit-def: $vgpr8_vgpr9
	s_and_saveexec_b32 s2, vcc_lo
	s_delay_alu instid0(SALU_CYCLE_1)
	s_xor_b32 s11, exec_lo, s2
	s_cbranch_execz .LBB24_15
; %bb.14:
	s_ashr_i32 s4, s9, 31
	s_delay_alu instid0(SALU_CYCLE_1) | instskip(SKIP_2) | instid1(SALU_CYCLE_1)
	s_add_u32 s6, s10, s4
	s_mov_b32 s5, s4
	s_addc_u32 s7, s9, s4
	s_xor_b64 s[6:7], s[6:7], s[4:5]
	s_delay_alu instid0(SALU_CYCLE_1) | instskip(SKIP_3) | instid1(VALU_DEP_1)
	v_cvt_f32_u32_e32 v8, s6
	v_cvt_f32_u32_e32 v9, s7
	s_sub_u32 s2, 0, s6
	s_subb_u32 s5, 0, s7
	v_fmamk_f32 v8, v9, 0x4f800000, v8
	s_delay_alu instid0(VALU_DEP_1) | instskip(SKIP_2) | instid1(VALU_DEP_1)
	v_rcp_f32_e32 v8, v8
	s_waitcnt_depctr 0xfff
	v_mul_f32_e32 v8, 0x5f7ffffc, v8
	v_mul_f32_e32 v9, 0x2f800000, v8
	s_delay_alu instid0(VALU_DEP_1) | instskip(NEXT) | instid1(VALU_DEP_1)
	v_trunc_f32_e32 v9, v9
	v_fmamk_f32 v8, v9, 0xcf800000, v8
	v_cvt_u32_f32_e32 v9, v9
	s_delay_alu instid0(VALU_DEP_2) | instskip(NEXT) | instid1(VALU_DEP_2)
	v_cvt_u32_f32_e32 v8, v8
	v_mul_lo_u32 v11, s2, v9
	s_delay_alu instid0(VALU_DEP_2) | instskip(SKIP_1) | instid1(VALU_DEP_2)
	v_mul_hi_u32 v14, s2, v8
	v_mul_lo_u32 v15, s5, v8
	v_add_nc_u32_e32 v11, v14, v11
	v_mul_lo_u32 v14, s2, v8
	s_delay_alu instid0(VALU_DEP_2) | instskip(NEXT) | instid1(VALU_DEP_2)
	v_add_nc_u32_e32 v11, v11, v15
	v_mul_hi_u32 v15, v8, v14
	s_delay_alu instid0(VALU_DEP_2)
	v_mul_lo_u32 v16, v8, v11
	v_mul_hi_u32 v17, v8, v11
	v_mul_hi_u32 v18, v9, v14
	v_mul_lo_u32 v14, v9, v14
	v_mul_hi_u32 v19, v9, v11
	v_mul_lo_u32 v11, v9, v11
	v_add_co_u32 v15, vcc_lo, v15, v16
	v_add_co_ci_u32_e32 v16, vcc_lo, 0, v17, vcc_lo
	s_delay_alu instid0(VALU_DEP_2) | instskip(NEXT) | instid1(VALU_DEP_2)
	v_add_co_u32 v14, vcc_lo, v15, v14
	v_add_co_ci_u32_e32 v14, vcc_lo, v16, v18, vcc_lo
	v_add_co_ci_u32_e32 v15, vcc_lo, 0, v19, vcc_lo
	s_delay_alu instid0(VALU_DEP_2) | instskip(NEXT) | instid1(VALU_DEP_2)
	v_add_co_u32 v11, vcc_lo, v14, v11
	v_add_co_ci_u32_e32 v14, vcc_lo, 0, v15, vcc_lo
	s_delay_alu instid0(VALU_DEP_2) | instskip(NEXT) | instid1(VALU_DEP_2)
	v_add_co_u32 v8, vcc_lo, v8, v11
	v_add_co_ci_u32_e32 v9, vcc_lo, v9, v14, vcc_lo
	s_delay_alu instid0(VALU_DEP_2) | instskip(SKIP_1) | instid1(VALU_DEP_3)
	v_mul_hi_u32 v11, s2, v8
	v_mul_lo_u32 v15, s5, v8
	v_mul_lo_u32 v14, s2, v9
	s_delay_alu instid0(VALU_DEP_1) | instskip(SKIP_1) | instid1(VALU_DEP_2)
	v_add_nc_u32_e32 v11, v11, v14
	v_mul_lo_u32 v14, s2, v8
	v_add_nc_u32_e32 v11, v11, v15
	s_delay_alu instid0(VALU_DEP_2) | instskip(NEXT) | instid1(VALU_DEP_2)
	v_mul_hi_u32 v15, v8, v14
	v_mul_lo_u32 v16, v8, v11
	v_mul_hi_u32 v17, v8, v11
	v_mul_hi_u32 v18, v9, v14
	v_mul_lo_u32 v14, v9, v14
	v_mul_hi_u32 v19, v9, v11
	v_mul_lo_u32 v11, v9, v11
	v_add_co_u32 v15, vcc_lo, v15, v16
	v_add_co_ci_u32_e32 v16, vcc_lo, 0, v17, vcc_lo
	s_delay_alu instid0(VALU_DEP_2) | instskip(NEXT) | instid1(VALU_DEP_2)
	v_add_co_u32 v14, vcc_lo, v15, v14
	v_add_co_ci_u32_e32 v14, vcc_lo, v16, v18, vcc_lo
	v_add_co_ci_u32_e32 v15, vcc_lo, 0, v19, vcc_lo
	v_add_co_u32 v16, vcc_lo, v4, v10
	v_add_co_ci_u32_e32 v17, vcc_lo, v5, v10, vcc_lo
	s_delay_alu instid0(VALU_DEP_4) | instskip(NEXT) | instid1(VALU_DEP_4)
	v_add_co_u32 v11, vcc_lo, v14, v11
	v_add_co_ci_u32_e32 v14, vcc_lo, 0, v15, vcc_lo
	s_delay_alu instid0(VALU_DEP_4) | instskip(NEXT) | instid1(VALU_DEP_3)
	v_xor_b32_e32 v18, v16, v10
	v_add_co_u32 v11, vcc_lo, v8, v11
	s_delay_alu instid0(VALU_DEP_3) | instskip(SKIP_1) | instid1(VALU_DEP_3)
	v_add_co_ci_u32_e32 v19, vcc_lo, v9, v14, vcc_lo
	v_xor_b32_e32 v20, v17, v10
	v_mul_hi_u32 v21, v18, v11
	v_xor_b32_e32 v10, s4, v10
	s_delay_alu instid0(VALU_DEP_4) | instskip(NEXT) | instid1(VALU_DEP_4)
	v_mad_u64_u32 v[8:9], null, v18, v19, 0
	v_mad_u64_u32 v[14:15], null, v20, v11, 0
	;; [unrolled: 1-line block ×3, first 2 shown]
	s_delay_alu instid0(VALU_DEP_3) | instskip(NEXT) | instid1(VALU_DEP_4)
	v_add_co_u32 v8, vcc_lo, v21, v8
	v_add_co_ci_u32_e32 v9, vcc_lo, 0, v9, vcc_lo
	s_delay_alu instid0(VALU_DEP_2) | instskip(NEXT) | instid1(VALU_DEP_2)
	v_add_co_u32 v8, vcc_lo, v8, v14
	v_add_co_ci_u32_e32 v8, vcc_lo, v9, v15, vcc_lo
	v_add_co_ci_u32_e32 v9, vcc_lo, 0, v17, vcc_lo
	s_delay_alu instid0(VALU_DEP_2) | instskip(NEXT) | instid1(VALU_DEP_2)
	v_add_co_u32 v11, vcc_lo, v8, v16
	v_add_co_ci_u32_e32 v14, vcc_lo, 0, v9, vcc_lo
	s_delay_alu instid0(VALU_DEP_2) | instskip(SKIP_1) | instid1(VALU_DEP_3)
	v_mul_lo_u32 v15, s7, v11
	v_mad_u64_u32 v[8:9], null, s6, v11, 0
	v_mul_lo_u32 v16, s6, v14
	s_delay_alu instid0(VALU_DEP_2) | instskip(NEXT) | instid1(VALU_DEP_2)
	v_sub_co_u32 v8, vcc_lo, v18, v8
	v_add3_u32 v9, v9, v16, v15
	s_delay_alu instid0(VALU_DEP_1) | instskip(NEXT) | instid1(VALU_DEP_1)
	v_sub_nc_u32_e32 v15, v20, v9
	v_subrev_co_ci_u32_e64 v15, s2, s7, v15, vcc_lo
	v_add_co_u32 v16, s2, v11, 2
	s_delay_alu instid0(VALU_DEP_1) | instskip(SKIP_3) | instid1(VALU_DEP_3)
	v_add_co_ci_u32_e64 v17, s2, 0, v14, s2
	v_sub_co_u32 v18, s2, v8, s6
	v_sub_co_ci_u32_e32 v9, vcc_lo, v20, v9, vcc_lo
	v_subrev_co_ci_u32_e64 v15, s2, 0, v15, s2
	v_cmp_le_u32_e32 vcc_lo, s6, v18
	s_delay_alu instid0(VALU_DEP_3) | instskip(SKIP_1) | instid1(VALU_DEP_4)
	v_cmp_eq_u32_e64 s2, s7, v9
	v_cndmask_b32_e64 v18, 0, -1, vcc_lo
	v_cmp_le_u32_e32 vcc_lo, s7, v15
	v_cndmask_b32_e64 v19, 0, -1, vcc_lo
	v_cmp_le_u32_e32 vcc_lo, s6, v8
	;; [unrolled: 2-line block ×3, first 2 shown]
	v_cndmask_b32_e64 v20, 0, -1, vcc_lo
	v_cmp_eq_u32_e32 vcc_lo, s7, v15
	s_delay_alu instid0(VALU_DEP_2) | instskip(SKIP_3) | instid1(VALU_DEP_3)
	v_cndmask_b32_e64 v8, v20, v8, s2
	v_cndmask_b32_e32 v15, v19, v18, vcc_lo
	v_add_co_u32 v18, vcc_lo, v11, 1
	v_add_co_ci_u32_e32 v19, vcc_lo, 0, v14, vcc_lo
	v_cmp_ne_u32_e32 vcc_lo, 0, v15
	s_delay_alu instid0(VALU_DEP_2) | instskip(NEXT) | instid1(VALU_DEP_4)
	v_cndmask_b32_e32 v9, v19, v17, vcc_lo
	v_cndmask_b32_e32 v15, v18, v16, vcc_lo
	v_cmp_ne_u32_e32 vcc_lo, 0, v8
	s_delay_alu instid0(VALU_DEP_2) | instskip(NEXT) | instid1(VALU_DEP_1)
	v_dual_cndmask_b32 v8, v14, v9 :: v_dual_cndmask_b32 v9, v11, v15
	v_xor_b32_e32 v11, v8, v10
	s_delay_alu instid0(VALU_DEP_2) | instskip(NEXT) | instid1(VALU_DEP_1)
	v_xor_b32_e32 v9, v9, v10
	v_sub_co_u32 v8, vcc_lo, v9, v10
	s_delay_alu instid0(VALU_DEP_3)
	v_sub_co_ci_u32_e32 v9, vcc_lo, v11, v10, vcc_lo
.LBB24_15:
	s_and_not1_saveexec_b32 s2, s11
	s_cbranch_execz .LBB24_17
; %bb.16:
	v_cvt_f32_u32_e32 v8, s10
	s_sub_i32 s4, 0, s10
	s_delay_alu instid0(VALU_DEP_1) | instskip(SKIP_2) | instid1(VALU_DEP_1)
	v_rcp_iflag_f32_e32 v8, v8
	s_waitcnt_depctr 0xfff
	v_mul_f32_e32 v8, 0x4f7ffffe, v8
	v_cvt_u32_f32_e32 v8, v8
	s_delay_alu instid0(VALU_DEP_1) | instskip(NEXT) | instid1(VALU_DEP_1)
	v_mul_lo_u32 v9, s4, v8
	v_mul_hi_u32 v9, v8, v9
	s_delay_alu instid0(VALU_DEP_1) | instskip(NEXT) | instid1(VALU_DEP_1)
	v_add_nc_u32_e32 v8, v8, v9
	v_mul_hi_u32 v8, v4, v8
	s_delay_alu instid0(VALU_DEP_1) | instskip(SKIP_1) | instid1(VALU_DEP_2)
	v_mul_lo_u32 v9, v8, s10
	v_add_nc_u32_e32 v10, 1, v8
	v_sub_nc_u32_e32 v9, v4, v9
	s_delay_alu instid0(VALU_DEP_1) | instskip(SKIP_1) | instid1(VALU_DEP_2)
	v_subrev_nc_u32_e32 v11, s10, v9
	v_cmp_le_u32_e32 vcc_lo, s10, v9
	v_dual_cndmask_b32 v9, v9, v11 :: v_dual_cndmask_b32 v8, v8, v10
	s_delay_alu instid0(VALU_DEP_1) | instskip(NEXT) | instid1(VALU_DEP_2)
	v_cmp_le_u32_e32 vcc_lo, s10, v9
	v_dual_mov_b32 v9, 0 :: v_dual_add_nc_u32 v10, 1, v8
	s_delay_alu instid0(VALU_DEP_1)
	v_cndmask_b32_e32 v8, v8, v10, vcc_lo
.LBB24_17:
	s_or_b32 exec_lo, exec_lo, s2
	s_delay_alu instid0(VALU_DEP_1) | instskip(NEXT) | instid1(VALU_DEP_2)
	v_mul_lo_u32 v14, s9, v8
	v_mul_lo_u32 v15, s10, v9
	v_mad_u64_u32 v[10:11], null, s10, v8, 0
	s_delay_alu instid0(VALU_DEP_1) | instskip(NEXT) | instid1(VALU_DEP_2)
	v_add3_u32 v11, v11, v15, v14
	v_sub_co_u32 v10, vcc_lo, v4, v10
	v_mov_b32_e32 v4, 0
	s_delay_alu instid0(VALU_DEP_3) | instskip(NEXT) | instid1(VALU_DEP_1)
	v_sub_co_ci_u32_e32 v11, vcc_lo, v5, v11, vcc_lo
	v_or_b32_e32 v5, s8, v11
	s_delay_alu instid0(VALU_DEP_1) | instskip(SKIP_1) | instid1(SALU_CYCLE_1)
	v_cmp_ne_u64_e32 vcc_lo, 0, v[4:5]
                                        ; implicit-def: $vgpr4_vgpr5
	s_and_saveexec_b32 s2, vcc_lo
	s_xor_b32 s9, exec_lo, s2
	s_cbranch_execz .LBB24_19
; %bb.18:
	s_ashr_i32 s4, s8, 31
	s_delay_alu instid0(SALU_CYCLE_1) | instskip(SKIP_2) | instid1(SALU_CYCLE_1)
	s_add_u32 s6, s3, s4
	s_mov_b32 s5, s4
	s_addc_u32 s7, s8, s4
	s_xor_b64 s[6:7], s[6:7], s[4:5]
	s_delay_alu instid0(SALU_CYCLE_1) | instskip(SKIP_3) | instid1(VALU_DEP_1)
	v_cvt_f32_u32_e32 v4, s6
	v_cvt_f32_u32_e32 v5, s7
	s_sub_u32 s2, 0, s6
	s_subb_u32 s5, 0, s7
	v_fmamk_f32 v4, v5, 0x4f800000, v4
	s_delay_alu instid0(VALU_DEP_1) | instskip(SKIP_2) | instid1(VALU_DEP_1)
	v_rcp_f32_e32 v4, v4
	s_waitcnt_depctr 0xfff
	v_mul_f32_e32 v4, 0x5f7ffffc, v4
	v_mul_f32_e32 v5, 0x2f800000, v4
	s_delay_alu instid0(VALU_DEP_1) | instskip(NEXT) | instid1(VALU_DEP_1)
	v_trunc_f32_e32 v5, v5
	v_fmamk_f32 v4, v5, 0xcf800000, v4
	v_cvt_u32_f32_e32 v5, v5
	s_delay_alu instid0(VALU_DEP_2) | instskip(NEXT) | instid1(VALU_DEP_2)
	v_cvt_u32_f32_e32 v4, v4
	v_mul_lo_u32 v14, s2, v5
	s_delay_alu instid0(VALU_DEP_2) | instskip(SKIP_1) | instid1(VALU_DEP_2)
	v_mul_hi_u32 v15, s2, v4
	v_mul_lo_u32 v16, s5, v4
	v_add_nc_u32_e32 v14, v15, v14
	v_mul_lo_u32 v15, s2, v4
	s_delay_alu instid0(VALU_DEP_2) | instskip(NEXT) | instid1(VALU_DEP_2)
	v_add_nc_u32_e32 v14, v14, v16
	v_mul_hi_u32 v16, v4, v15
	s_delay_alu instid0(VALU_DEP_2)
	v_mul_lo_u32 v17, v4, v14
	v_mul_hi_u32 v18, v4, v14
	v_mul_hi_u32 v19, v5, v15
	v_mul_lo_u32 v15, v5, v15
	v_mul_hi_u32 v20, v5, v14
	v_mul_lo_u32 v14, v5, v14
	v_add_co_u32 v16, vcc_lo, v16, v17
	v_add_co_ci_u32_e32 v17, vcc_lo, 0, v18, vcc_lo
	s_delay_alu instid0(VALU_DEP_2) | instskip(NEXT) | instid1(VALU_DEP_2)
	v_add_co_u32 v15, vcc_lo, v16, v15
	v_add_co_ci_u32_e32 v15, vcc_lo, v17, v19, vcc_lo
	v_add_co_ci_u32_e32 v16, vcc_lo, 0, v20, vcc_lo
	v_ashrrev_i32_e32 v19, 31, v11
	s_delay_alu instid0(VALU_DEP_3) | instskip(NEXT) | instid1(VALU_DEP_3)
	v_add_co_u32 v14, vcc_lo, v15, v14
	v_add_co_ci_u32_e32 v15, vcc_lo, 0, v16, vcc_lo
	s_delay_alu instid0(VALU_DEP_2) | instskip(NEXT) | instid1(VALU_DEP_2)
	v_add_co_u32 v4, vcc_lo, v4, v14
	v_add_co_ci_u32_e32 v5, vcc_lo, v5, v15, vcc_lo
	s_delay_alu instid0(VALU_DEP_2) | instskip(SKIP_1) | instid1(VALU_DEP_3)
	v_mul_hi_u32 v14, s2, v4
	v_mul_lo_u32 v16, s5, v4
	v_mul_lo_u32 v15, s2, v5
	s_delay_alu instid0(VALU_DEP_1) | instskip(SKIP_1) | instid1(VALU_DEP_2)
	v_add_nc_u32_e32 v14, v14, v15
	v_mul_lo_u32 v15, s2, v4
	v_add_nc_u32_e32 v14, v14, v16
	s_delay_alu instid0(VALU_DEP_2) | instskip(NEXT) | instid1(VALU_DEP_2)
	v_mul_hi_u32 v16, v4, v15
	v_mul_lo_u32 v17, v4, v14
	v_mul_hi_u32 v18, v4, v14
	v_mul_hi_u32 v20, v5, v15
	v_mul_lo_u32 v15, v5, v15
	v_mul_hi_u32 v21, v5, v14
	v_mul_lo_u32 v14, v5, v14
	v_add_co_u32 v16, vcc_lo, v16, v17
	v_add_co_ci_u32_e32 v17, vcc_lo, 0, v18, vcc_lo
	s_delay_alu instid0(VALU_DEP_2) | instskip(NEXT) | instid1(VALU_DEP_2)
	v_add_co_u32 v15, vcc_lo, v16, v15
	v_add_co_ci_u32_e32 v15, vcc_lo, v17, v20, vcc_lo
	v_add_co_ci_u32_e32 v16, vcc_lo, 0, v21, vcc_lo
	v_add_co_u32 v17, vcc_lo, v10, v19
	v_add_co_ci_u32_e32 v18, vcc_lo, v11, v19, vcc_lo
	s_delay_alu instid0(VALU_DEP_4) | instskip(NEXT) | instid1(VALU_DEP_4)
	v_add_co_u32 v14, vcc_lo, v15, v14
	v_add_co_ci_u32_e32 v15, vcc_lo, 0, v16, vcc_lo
	s_delay_alu instid0(VALU_DEP_4) | instskip(NEXT) | instid1(VALU_DEP_3)
	v_xor_b32_e32 v20, v17, v19
	v_add_co_u32 v16, vcc_lo, v4, v14
	s_delay_alu instid0(VALU_DEP_3) | instskip(SKIP_1) | instid1(VALU_DEP_3)
	v_add_co_ci_u32_e32 v21, vcc_lo, v5, v15, vcc_lo
	v_xor_b32_e32 v18, v18, v19
	v_mul_hi_u32 v22, v20, v16
	s_delay_alu instid0(VALU_DEP_3) | instskip(NEXT) | instid1(VALU_DEP_3)
	v_mad_u64_u32 v[4:5], null, v20, v21, 0
	v_mad_u64_u32 v[14:15], null, v18, v16, 0
	;; [unrolled: 1-line block ×3, first 2 shown]
	s_delay_alu instid0(VALU_DEP_3) | instskip(NEXT) | instid1(VALU_DEP_4)
	v_add_co_u32 v4, vcc_lo, v22, v4
	v_add_co_ci_u32_e32 v5, vcc_lo, 0, v5, vcc_lo
	s_delay_alu instid0(VALU_DEP_2) | instskip(NEXT) | instid1(VALU_DEP_2)
	v_add_co_u32 v4, vcc_lo, v4, v14
	v_add_co_ci_u32_e32 v4, vcc_lo, v5, v15, vcc_lo
	v_add_co_ci_u32_e32 v5, vcc_lo, 0, v17, vcc_lo
	s_delay_alu instid0(VALU_DEP_2) | instskip(NEXT) | instid1(VALU_DEP_2)
	v_add_co_u32 v14, vcc_lo, v4, v16
	v_add_co_ci_u32_e32 v15, vcc_lo, 0, v5, vcc_lo
	s_delay_alu instid0(VALU_DEP_2) | instskip(SKIP_1) | instid1(VALU_DEP_3)
	v_mul_lo_u32 v16, s7, v14
	v_mad_u64_u32 v[4:5], null, s6, v14, 0
	v_mul_lo_u32 v17, s6, v15
	s_delay_alu instid0(VALU_DEP_2) | instskip(NEXT) | instid1(VALU_DEP_2)
	v_sub_co_u32 v4, vcc_lo, v20, v4
	v_add3_u32 v5, v5, v17, v16
	s_delay_alu instid0(VALU_DEP_1) | instskip(NEXT) | instid1(VALU_DEP_1)
	v_sub_nc_u32_e32 v16, v18, v5
	v_subrev_co_ci_u32_e64 v16, s2, s7, v16, vcc_lo
	v_add_co_u32 v17, s2, v14, 2
	s_delay_alu instid0(VALU_DEP_1) | instskip(SKIP_3) | instid1(VALU_DEP_3)
	v_add_co_ci_u32_e64 v20, s2, 0, v15, s2
	v_sub_co_u32 v21, s2, v4, s6
	v_sub_co_ci_u32_e32 v5, vcc_lo, v18, v5, vcc_lo
	v_subrev_co_ci_u32_e64 v16, s2, 0, v16, s2
	v_cmp_le_u32_e32 vcc_lo, s6, v21
	s_delay_alu instid0(VALU_DEP_3) | instskip(SKIP_1) | instid1(VALU_DEP_4)
	v_cmp_eq_u32_e64 s2, s7, v5
	v_cndmask_b32_e64 v18, 0, -1, vcc_lo
	v_cmp_le_u32_e32 vcc_lo, s7, v16
	v_cndmask_b32_e64 v21, 0, -1, vcc_lo
	v_cmp_le_u32_e32 vcc_lo, s6, v4
	v_cndmask_b32_e64 v4, 0, -1, vcc_lo
	v_cmp_le_u32_e32 vcc_lo, s7, v5
	v_cndmask_b32_e64 v22, 0, -1, vcc_lo
	v_cmp_eq_u32_e32 vcc_lo, s7, v16
	s_delay_alu instid0(VALU_DEP_2) | instskip(SKIP_3) | instid1(VALU_DEP_3)
	v_cndmask_b32_e64 v4, v22, v4, s2
	v_cndmask_b32_e32 v16, v21, v18, vcc_lo
	v_add_co_u32 v18, vcc_lo, v14, 1
	v_add_co_ci_u32_e32 v21, vcc_lo, 0, v15, vcc_lo
	v_cmp_ne_u32_e32 vcc_lo, 0, v16
	s_delay_alu instid0(VALU_DEP_2) | instskip(SKIP_2) | instid1(VALU_DEP_3)
	v_dual_cndmask_b32 v5, v21, v20 :: v_dual_cndmask_b32 v16, v18, v17
	v_cmp_ne_u32_e32 vcc_lo, 0, v4
	v_xor_b32_e32 v17, s4, v19
	v_dual_cndmask_b32 v4, v15, v5 :: v_dual_cndmask_b32 v5, v14, v16
	s_delay_alu instid0(VALU_DEP_1) | instskip(NEXT) | instid1(VALU_DEP_2)
	v_xor_b32_e32 v14, v4, v17
	v_xor_b32_e32 v5, v5, v17
	s_delay_alu instid0(VALU_DEP_1) | instskip(NEXT) | instid1(VALU_DEP_3)
	v_sub_co_u32 v4, vcc_lo, v5, v17
	v_sub_co_ci_u32_e32 v5, vcc_lo, v14, v17, vcc_lo
.LBB24_19:
	s_and_not1_saveexec_b32 s2, s9
	s_cbranch_execz .LBB24_21
; %bb.20:
	v_cvt_f32_u32_e32 v4, s3
	s_sub_i32 s4, 0, s3
	s_delay_alu instid0(VALU_DEP_1) | instskip(SKIP_2) | instid1(VALU_DEP_1)
	v_rcp_iflag_f32_e32 v4, v4
	s_waitcnt_depctr 0xfff
	v_mul_f32_e32 v4, 0x4f7ffffe, v4
	v_cvt_u32_f32_e32 v4, v4
	s_delay_alu instid0(VALU_DEP_1) | instskip(NEXT) | instid1(VALU_DEP_1)
	v_mul_lo_u32 v5, s4, v4
	v_mul_hi_u32 v5, v4, v5
	s_delay_alu instid0(VALU_DEP_1) | instskip(NEXT) | instid1(VALU_DEP_1)
	v_add_nc_u32_e32 v4, v4, v5
	v_mul_hi_u32 v4, v10, v4
	s_delay_alu instid0(VALU_DEP_1) | instskip(SKIP_1) | instid1(VALU_DEP_2)
	v_mul_lo_u32 v5, v4, s3
	v_add_nc_u32_e32 v14, 1, v4
	v_sub_nc_u32_e32 v5, v10, v5
	s_delay_alu instid0(VALU_DEP_1) | instskip(SKIP_1) | instid1(VALU_DEP_2)
	v_subrev_nc_u32_e32 v15, s3, v5
	v_cmp_le_u32_e32 vcc_lo, s3, v5
	v_dual_cndmask_b32 v5, v5, v15 :: v_dual_cndmask_b32 v4, v4, v14
	s_delay_alu instid0(VALU_DEP_1) | instskip(NEXT) | instid1(VALU_DEP_2)
	v_cmp_le_u32_e32 vcc_lo, s3, v5
	v_dual_mov_b32 v5, 0 :: v_dual_add_nc_u32 v14, 1, v4
	s_delay_alu instid0(VALU_DEP_1)
	v_cndmask_b32_e32 v4, v4, v14, vcc_lo
.LBB24_21:
	s_or_b32 exec_lo, exec_lo, s2
	s_delay_alu instid0(VALU_DEP_1) | instskip(NEXT) | instid1(VALU_DEP_2)
	v_mul_lo_u32 v16, s8, v4
	v_mul_lo_u32 v17, s3, v5
	v_mad_u64_u32 v[14:15], null, s3, v4, 0
	s_delay_alu instid0(VALU_DEP_1) | instskip(NEXT) | instid1(VALU_DEP_2)
	v_add3_u32 v15, v15, v17, v16
	v_sub_co_u32 v14, vcc_lo, v10, v14
	v_mov_b32_e32 v10, 0
	s_delay_alu instid0(VALU_DEP_3) | instskip(NEXT) | instid1(VALU_DEP_1)
	v_sub_co_ci_u32_e32 v15, vcc_lo, v11, v15, vcc_lo
	v_or_b32_e32 v11, s41, v15
	s_delay_alu instid0(VALU_DEP_1) | instskip(SKIP_1) | instid1(SALU_CYCLE_1)
	v_cmp_ne_u64_e32 vcc_lo, 0, v[10:11]
                                        ; implicit-def: $vgpr10_vgpr11
	s_and_saveexec_b32 s2, vcc_lo
	s_xor_b32 s3, exec_lo, s2
	s_cbranch_execz .LBB24_23
; %bb.22:
	s_ashr_i32 s4, s41, 31
	s_delay_alu instid0(SALU_CYCLE_1) | instskip(SKIP_2) | instid1(SALU_CYCLE_1)
	s_add_u32 s6, s40, s4
	s_mov_b32 s5, s4
	s_addc_u32 s7, s41, s4
	s_xor_b64 s[6:7], s[6:7], s[4:5]
	s_delay_alu instid0(SALU_CYCLE_1) | instskip(SKIP_3) | instid1(VALU_DEP_1)
	v_cvt_f32_u32_e32 v10, s6
	v_cvt_f32_u32_e32 v11, s7
	s_sub_u32 s2, 0, s6
	s_subb_u32 s5, 0, s7
	v_fmamk_f32 v10, v11, 0x4f800000, v10
	s_delay_alu instid0(VALU_DEP_1) | instskip(SKIP_2) | instid1(VALU_DEP_1)
	v_rcp_f32_e32 v10, v10
	s_waitcnt_depctr 0xfff
	v_mul_f32_e32 v10, 0x5f7ffffc, v10
	v_mul_f32_e32 v11, 0x2f800000, v10
	s_delay_alu instid0(VALU_DEP_1) | instskip(NEXT) | instid1(VALU_DEP_1)
	v_trunc_f32_e32 v11, v11
	v_fmamk_f32 v10, v11, 0xcf800000, v10
	v_cvt_u32_f32_e32 v11, v11
	s_delay_alu instid0(VALU_DEP_2) | instskip(NEXT) | instid1(VALU_DEP_2)
	v_cvt_u32_f32_e32 v10, v10
	v_mul_lo_u32 v16, s2, v11
	s_delay_alu instid0(VALU_DEP_2) | instskip(SKIP_1) | instid1(VALU_DEP_2)
	v_mul_hi_u32 v17, s2, v10
	v_mul_lo_u32 v18, s5, v10
	v_add_nc_u32_e32 v16, v17, v16
	v_mul_lo_u32 v17, s2, v10
	s_delay_alu instid0(VALU_DEP_2) | instskip(NEXT) | instid1(VALU_DEP_2)
	v_add_nc_u32_e32 v16, v16, v18
	v_mul_hi_u32 v18, v10, v17
	s_delay_alu instid0(VALU_DEP_2)
	v_mul_lo_u32 v19, v10, v16
	v_mul_hi_u32 v20, v10, v16
	v_mul_hi_u32 v21, v11, v17
	v_mul_lo_u32 v17, v11, v17
	v_mul_hi_u32 v22, v11, v16
	v_mul_lo_u32 v16, v11, v16
	v_add_co_u32 v18, vcc_lo, v18, v19
	v_add_co_ci_u32_e32 v19, vcc_lo, 0, v20, vcc_lo
	s_delay_alu instid0(VALU_DEP_2) | instskip(NEXT) | instid1(VALU_DEP_2)
	v_add_co_u32 v17, vcc_lo, v18, v17
	v_add_co_ci_u32_e32 v17, vcc_lo, v19, v21, vcc_lo
	v_add_co_ci_u32_e32 v18, vcc_lo, 0, v22, vcc_lo
	v_ashrrev_i32_e32 v21, 31, v15
	s_delay_alu instid0(VALU_DEP_3) | instskip(NEXT) | instid1(VALU_DEP_3)
	v_add_co_u32 v16, vcc_lo, v17, v16
	v_add_co_ci_u32_e32 v17, vcc_lo, 0, v18, vcc_lo
	s_delay_alu instid0(VALU_DEP_2) | instskip(NEXT) | instid1(VALU_DEP_2)
	v_add_co_u32 v10, vcc_lo, v10, v16
	v_add_co_ci_u32_e32 v11, vcc_lo, v11, v17, vcc_lo
	s_delay_alu instid0(VALU_DEP_2) | instskip(SKIP_1) | instid1(VALU_DEP_3)
	v_mul_hi_u32 v16, s2, v10
	v_mul_lo_u32 v18, s5, v10
	v_mul_lo_u32 v17, s2, v11
	s_delay_alu instid0(VALU_DEP_1) | instskip(SKIP_1) | instid1(VALU_DEP_2)
	v_add_nc_u32_e32 v16, v16, v17
	v_mul_lo_u32 v17, s2, v10
	v_add_nc_u32_e32 v16, v16, v18
	s_delay_alu instid0(VALU_DEP_2) | instskip(NEXT) | instid1(VALU_DEP_2)
	v_mul_hi_u32 v18, v10, v17
	v_mul_lo_u32 v19, v10, v16
	v_mul_hi_u32 v20, v10, v16
	v_mul_hi_u32 v22, v11, v17
	v_mul_lo_u32 v17, v11, v17
	v_mul_hi_u32 v23, v11, v16
	v_mul_lo_u32 v16, v11, v16
	v_add_co_u32 v18, vcc_lo, v18, v19
	v_add_co_ci_u32_e32 v19, vcc_lo, 0, v20, vcc_lo
	s_delay_alu instid0(VALU_DEP_2) | instskip(NEXT) | instid1(VALU_DEP_2)
	v_add_co_u32 v17, vcc_lo, v18, v17
	v_add_co_ci_u32_e32 v17, vcc_lo, v19, v22, vcc_lo
	v_add_co_ci_u32_e32 v18, vcc_lo, 0, v23, vcc_lo
	v_add_co_u32 v19, vcc_lo, v14, v21
	v_add_co_ci_u32_e32 v20, vcc_lo, v15, v21, vcc_lo
	s_delay_alu instid0(VALU_DEP_4) | instskip(NEXT) | instid1(VALU_DEP_4)
	v_add_co_u32 v16, vcc_lo, v17, v16
	v_add_co_ci_u32_e32 v17, vcc_lo, 0, v18, vcc_lo
	s_delay_alu instid0(VALU_DEP_4) | instskip(NEXT) | instid1(VALU_DEP_3)
	v_xor_b32_e32 v22, v19, v21
	v_add_co_u32 v18, vcc_lo, v10, v16
	s_delay_alu instid0(VALU_DEP_3) | instskip(SKIP_1) | instid1(VALU_DEP_3)
	v_add_co_ci_u32_e32 v23, vcc_lo, v11, v17, vcc_lo
	v_xor_b32_e32 v20, v20, v21
	v_mul_hi_u32 v24, v22, v18
	s_delay_alu instid0(VALU_DEP_3) | instskip(NEXT) | instid1(VALU_DEP_3)
	v_mad_u64_u32 v[10:11], null, v22, v23, 0
	v_mad_u64_u32 v[16:17], null, v20, v18, 0
	;; [unrolled: 1-line block ×3, first 2 shown]
	s_delay_alu instid0(VALU_DEP_3) | instskip(NEXT) | instid1(VALU_DEP_4)
	v_add_co_u32 v10, vcc_lo, v24, v10
	v_add_co_ci_u32_e32 v11, vcc_lo, 0, v11, vcc_lo
	s_delay_alu instid0(VALU_DEP_2) | instskip(NEXT) | instid1(VALU_DEP_2)
	v_add_co_u32 v10, vcc_lo, v10, v16
	v_add_co_ci_u32_e32 v10, vcc_lo, v11, v17, vcc_lo
	v_add_co_ci_u32_e32 v11, vcc_lo, 0, v19, vcc_lo
	s_delay_alu instid0(VALU_DEP_2) | instskip(NEXT) | instid1(VALU_DEP_2)
	v_add_co_u32 v16, vcc_lo, v10, v18
	v_add_co_ci_u32_e32 v17, vcc_lo, 0, v11, vcc_lo
	s_delay_alu instid0(VALU_DEP_2) | instskip(SKIP_1) | instid1(VALU_DEP_3)
	v_mul_lo_u32 v18, s7, v16
	v_mad_u64_u32 v[10:11], null, s6, v16, 0
	v_mul_lo_u32 v19, s6, v17
	s_delay_alu instid0(VALU_DEP_2) | instskip(NEXT) | instid1(VALU_DEP_2)
	v_sub_co_u32 v10, vcc_lo, v22, v10
	v_add3_u32 v11, v11, v19, v18
	s_delay_alu instid0(VALU_DEP_1) | instskip(NEXT) | instid1(VALU_DEP_1)
	v_sub_nc_u32_e32 v18, v20, v11
	v_subrev_co_ci_u32_e64 v18, s2, s7, v18, vcc_lo
	v_add_co_u32 v19, s2, v16, 2
	s_delay_alu instid0(VALU_DEP_1) | instskip(SKIP_3) | instid1(VALU_DEP_3)
	v_add_co_ci_u32_e64 v22, s2, 0, v17, s2
	v_sub_co_u32 v23, s2, v10, s6
	v_sub_co_ci_u32_e32 v11, vcc_lo, v20, v11, vcc_lo
	v_subrev_co_ci_u32_e64 v18, s2, 0, v18, s2
	v_cmp_le_u32_e32 vcc_lo, s6, v23
	s_delay_alu instid0(VALU_DEP_3) | instskip(SKIP_1) | instid1(VALU_DEP_4)
	v_cmp_eq_u32_e64 s2, s7, v11
	v_cndmask_b32_e64 v20, 0, -1, vcc_lo
	v_cmp_le_u32_e32 vcc_lo, s7, v18
	v_cndmask_b32_e64 v23, 0, -1, vcc_lo
	v_cmp_le_u32_e32 vcc_lo, s6, v10
	;; [unrolled: 2-line block ×3, first 2 shown]
	v_cndmask_b32_e64 v24, 0, -1, vcc_lo
	v_cmp_eq_u32_e32 vcc_lo, s7, v18
	s_delay_alu instid0(VALU_DEP_2) | instskip(SKIP_3) | instid1(VALU_DEP_3)
	v_cndmask_b32_e64 v10, v24, v10, s2
	v_cndmask_b32_e32 v18, v23, v20, vcc_lo
	v_add_co_u32 v20, vcc_lo, v16, 1
	v_add_co_ci_u32_e32 v23, vcc_lo, 0, v17, vcc_lo
	v_cmp_ne_u32_e32 vcc_lo, 0, v18
	s_delay_alu instid0(VALU_DEP_2) | instskip(SKIP_2) | instid1(VALU_DEP_3)
	v_dual_cndmask_b32 v11, v23, v22 :: v_dual_cndmask_b32 v18, v20, v19
	v_cmp_ne_u32_e32 vcc_lo, 0, v10
	v_xor_b32_e32 v19, s4, v21
	v_dual_cndmask_b32 v10, v17, v11 :: v_dual_cndmask_b32 v11, v16, v18
	s_delay_alu instid0(VALU_DEP_1) | instskip(NEXT) | instid1(VALU_DEP_2)
	v_xor_b32_e32 v16, v10, v19
	v_xor_b32_e32 v11, v11, v19
	s_delay_alu instid0(VALU_DEP_1) | instskip(NEXT) | instid1(VALU_DEP_3)
	v_sub_co_u32 v10, vcc_lo, v11, v19
	v_sub_co_ci_u32_e32 v11, vcc_lo, v16, v19, vcc_lo
.LBB24_23:
	s_and_not1_saveexec_b32 s2, s3
	s_cbranch_execz .LBB24_25
; %bb.24:
	v_cvt_f32_u32_e32 v10, s40
	s_sub_i32 s3, 0, s40
	s_delay_alu instid0(VALU_DEP_1) | instskip(SKIP_2) | instid1(VALU_DEP_1)
	v_rcp_iflag_f32_e32 v10, v10
	s_waitcnt_depctr 0xfff
	v_mul_f32_e32 v10, 0x4f7ffffe, v10
	v_cvt_u32_f32_e32 v10, v10
	s_delay_alu instid0(VALU_DEP_1) | instskip(NEXT) | instid1(VALU_DEP_1)
	v_mul_lo_u32 v11, s3, v10
	v_mul_hi_u32 v11, v10, v11
	s_delay_alu instid0(VALU_DEP_1) | instskip(NEXT) | instid1(VALU_DEP_1)
	v_add_nc_u32_e32 v10, v10, v11
	v_mul_hi_u32 v10, v14, v10
	s_delay_alu instid0(VALU_DEP_1) | instskip(SKIP_1) | instid1(VALU_DEP_2)
	v_mul_lo_u32 v11, v10, s40
	v_add_nc_u32_e32 v16, 1, v10
	v_sub_nc_u32_e32 v11, v14, v11
	s_delay_alu instid0(VALU_DEP_1) | instskip(SKIP_1) | instid1(VALU_DEP_2)
	v_subrev_nc_u32_e32 v17, s40, v11
	v_cmp_le_u32_e32 vcc_lo, s40, v11
	v_dual_cndmask_b32 v11, v11, v17 :: v_dual_cndmask_b32 v10, v10, v16
	s_delay_alu instid0(VALU_DEP_1) | instskip(NEXT) | instid1(VALU_DEP_2)
	v_cmp_le_u32_e32 vcc_lo, s40, v11
	v_dual_mov_b32 v11, 0 :: v_dual_add_nc_u32 v16, 1, v10
	s_delay_alu instid0(VALU_DEP_1)
	v_cndmask_b32_e32 v10, v10, v16, vcc_lo
.LBB24_25:
	s_or_b32 exec_lo, exec_lo, s2
	v_mul_lo_u32 v18, v7, s22
	v_mul_lo_u32 v19, v6, s23
	v_mad_u64_u32 v[16:17], null, v6, s22, 0
	v_mul_lo_u32 v7, v7, s30
	v_mul_lo_u32 v3, v3, s36
	s_load_b64 s[0:1], s[0:1], 0x80
	s_delay_alu instid0(VALU_DEP_3) | instskip(NEXT) | instid1(VALU_DEP_4)
	v_add3_u32 v17, v17, v19, v18
	v_sub_co_u32 v16, vcc_lo, v12, v16
	s_delay_alu instid0(VALU_DEP_2) | instskip(NEXT) | instid1(VALU_DEP_2)
	v_sub_co_ci_u32_e32 v17, vcc_lo, v13, v17, vcc_lo
	v_mul_lo_u32 v18, v16, s29
	v_mad_u64_u32 v[12:13], null, v16, s28, s[16:17]
	s_delay_alu instid0(VALU_DEP_3) | instskip(NEXT) | instid1(VALU_DEP_1)
	v_mul_lo_u32 v16, v17, s28
	v_add3_u32 v13, v16, v13, v18
	v_mul_lo_u32 v18, v6, s31
	s_delay_alu instid0(VALU_DEP_2) | instskip(SKIP_1) | instid1(VALU_DEP_2)
	v_mad_u64_u32 v[16:17], null, v6, s30, v[12:13]
	v_mul_lo_u32 v12, v2, s37
	v_add3_u32 v17, v7, v17, v18
	s_delay_alu instid0(VALU_DEP_1) | instskip(NEXT) | instid1(VALU_DEP_1)
	v_mad_u64_u32 v[6:7], null, v2, s36, v[16:17]
	v_add3_u32 v7, v3, v7, v12
	v_mul_lo_u32 v12, v0, s39
	s_delay_alu instid0(VALU_DEP_2) | instskip(SKIP_1) | instid1(VALU_DEP_1)
	v_mad_u64_u32 v[2:3], null, v0, s38, v[6:7]
	v_mul_lo_u32 v0, v1, s38
	v_add3_u32 v3, v0, v3, v12
	v_mad_u64_u32 v[0:1], null, v10, s40, 0
	global_load_u16 v6, v[2:3], off
	v_mul_lo_u32 v2, v11, s40
	v_mul_lo_u32 v3, v10, s41
	s_delay_alu instid0(VALU_DEP_1) | instskip(SKIP_1) | instid1(VALU_DEP_2)
	v_add3_u32 v1, v1, v3, v2
	v_sub_co_u32 v2, vcc_lo, v14, v0
	v_sub_co_ci_u32_e32 v0, vcc_lo, v15, v1, vcc_lo
	s_delay_alu instid0(VALU_DEP_2) | instskip(NEXT) | instid1(VALU_DEP_2)
	v_mul_lo_u32 v3, v2, s47
	v_mul_lo_u32 v7, v0, s46
	v_mad_u64_u32 v[0:1], null, v2, s46, s[18:19]
	s_delay_alu instid0(VALU_DEP_1) | instskip(NEXT) | instid1(VALU_DEP_1)
	v_add3_u32 v1, v7, v1, v3
	v_mad_u64_u32 v[2:3], null, v10, s48, v[0:1]
	v_mul_lo_u32 v0, v10, s49
	v_mul_lo_u32 v1, v11, s48
	s_delay_alu instid0(VALU_DEP_1) | instskip(NEXT) | instid1(VALU_DEP_1)
	v_add3_u32 v3, v1, v3, v0
	v_mad_u64_u32 v[0:1], null, v4, s50, v[2:3]
	v_mul_lo_u32 v2, v4, s51
	v_mul_lo_u32 v3, v5, s50
	s_delay_alu instid0(VALU_DEP_1) | instskip(SKIP_1) | instid1(VALU_DEP_1)
	v_add3_u32 v1, v3, v1, v2
	s_waitcnt lgkmcnt(0)
	v_mad_u64_u32 v[2:3], null, v8, s0, v[0:1]
	v_mul_lo_u32 v0, v8, s1
	v_mul_lo_u32 v1, v9, s0
	s_delay_alu instid0(VALU_DEP_1)
	v_add3_u32 v3, v1, v3, v0
	s_waitcnt vmcnt(0)
	global_store_b16 v[2:3], v6, off
.LBB24_26:
	s_nop 0
	s_sendmsg sendmsg(MSG_DEALLOC_VGPRS)
	s_endpgm
	.section	.rodata,"a",@progbits
	.p2align	6, 0x0
	.amdhsa_kernel _ZL10cpy_scalarIXadL_ZL12cpy_1_scalarI14__hip_bfloat16S1_EvPKcPcEEEvS3_S4_lllllllllllllll
		.amdhsa_group_segment_fixed_size 0
		.amdhsa_private_segment_fixed_size 0
		.amdhsa_kernarg_size 392
		.amdhsa_user_sgpr_count 15
		.amdhsa_user_sgpr_dispatch_ptr 0
		.amdhsa_user_sgpr_queue_ptr 0
		.amdhsa_user_sgpr_kernarg_segment_ptr 1
		.amdhsa_user_sgpr_dispatch_id 0
		.amdhsa_user_sgpr_private_segment_size 0
		.amdhsa_wavefront_size32 1
		.amdhsa_uses_dynamic_stack 0
		.amdhsa_enable_private_segment 0
		.amdhsa_system_sgpr_workgroup_id_x 1
		.amdhsa_system_sgpr_workgroup_id_y 0
		.amdhsa_system_sgpr_workgroup_id_z 0
		.amdhsa_system_sgpr_workgroup_info 0
		.amdhsa_system_vgpr_workitem_id 0
		.amdhsa_next_free_vgpr 25
		.amdhsa_next_free_sgpr 52
		.amdhsa_reserve_vcc 1
		.amdhsa_float_round_mode_32 0
		.amdhsa_float_round_mode_16_64 0
		.amdhsa_float_denorm_mode_32 3
		.amdhsa_float_denorm_mode_16_64 3
		.amdhsa_dx10_clamp 1
		.amdhsa_ieee_mode 1
		.amdhsa_fp16_overflow 0
		.amdhsa_workgroup_processor_mode 1
		.amdhsa_memory_ordered 1
		.amdhsa_forward_progress 0
		.amdhsa_shared_vgpr_count 0
		.amdhsa_exception_fp_ieee_invalid_op 0
		.amdhsa_exception_fp_denorm_src 0
		.amdhsa_exception_fp_ieee_div_zero 0
		.amdhsa_exception_fp_ieee_overflow 0
		.amdhsa_exception_fp_ieee_underflow 0
		.amdhsa_exception_fp_ieee_inexact 0
		.amdhsa_exception_int_div_zero 0
	.end_amdhsa_kernel
	.section	.text._ZL10cpy_scalarIXadL_ZL12cpy_1_scalarI14__hip_bfloat16S1_EvPKcPcEEEvS3_S4_lllllllllllllll,"axG",@progbits,_ZL10cpy_scalarIXadL_ZL12cpy_1_scalarI14__hip_bfloat16S1_EvPKcPcEEEvS3_S4_lllllllllllllll,comdat
.Lfunc_end24:
	.size	_ZL10cpy_scalarIXadL_ZL12cpy_1_scalarI14__hip_bfloat16S1_EvPKcPcEEEvS3_S4_lllllllllllllll, .Lfunc_end24-_ZL10cpy_scalarIXadL_ZL12cpy_1_scalarI14__hip_bfloat16S1_EvPKcPcEEEvS3_S4_lllllllllllllll
                                        ; -- End function
	.section	.AMDGPU.csdata,"",@progbits
; Kernel info:
; codeLenInByte = 6828
; NumSgprs: 54
; NumVgprs: 25
; ScratchSize: 0
; MemoryBound: 0
; FloatMode: 240
; IeeeMode: 1
; LDSByteSize: 0 bytes/workgroup (compile time only)
; SGPRBlocks: 6
; VGPRBlocks: 3
; NumSGPRsForWavesPerEU: 54
; NumVGPRsForWavesPerEU: 25
; Occupancy: 16
; WaveLimiterHint : 0
; COMPUTE_PGM_RSRC2:SCRATCH_EN: 0
; COMPUTE_PGM_RSRC2:USER_SGPR: 15
; COMPUTE_PGM_RSRC2:TRAP_HANDLER: 0
; COMPUTE_PGM_RSRC2:TGID_X_EN: 1
; COMPUTE_PGM_RSRC2:TGID_Y_EN: 0
; COMPUTE_PGM_RSRC2:TGID_Z_EN: 0
; COMPUTE_PGM_RSRC2:TIDIG_COMP_CNT: 0
	.section	.text._ZL21cpy_scalar_contiguousI14__hip_bfloat166__halfEvPKcPcl,"axG",@progbits,_ZL21cpy_scalar_contiguousI14__hip_bfloat166__halfEvPKcPcl,comdat
	.globl	_ZL21cpy_scalar_contiguousI14__hip_bfloat166__halfEvPKcPcl ; -- Begin function _ZL21cpy_scalar_contiguousI14__hip_bfloat166__halfEvPKcPcl
	.p2align	8
	.type	_ZL21cpy_scalar_contiguousI14__hip_bfloat166__halfEvPKcPcl,@function
_ZL21cpy_scalar_contiguousI14__hip_bfloat166__halfEvPKcPcl: ; @_ZL21cpy_scalar_contiguousI14__hip_bfloat166__halfEvPKcPcl
; %bb.0:
	s_clause 0x1
	s_load_b32 s4, s[0:1], 0x24
	s_load_b64 s[2:3], s[0:1], 0x10
	v_mov_b32_e32 v1, 0
	s_waitcnt lgkmcnt(0)
	s_and_b32 s4, s4, 0xffff
	s_delay_alu instid0(VALU_DEP_1) | instid1(SALU_CYCLE_1)
	v_mad_u64_u32 v[2:3], null, s4, s15, v[0:1]
	s_delay_alu instid0(VALU_DEP_1)
	v_cmp_gt_i64_e32 vcc_lo, s[2:3], v[2:3]
	s_and_saveexec_b32 s2, vcc_lo
	s_cbranch_execz .LBB25_2
; %bb.1:
	s_load_b128 s[0:3], s[0:1], 0x0
	v_lshlrev_b64 v[0:1], 1, v[2:3]
	s_waitcnt lgkmcnt(0)
	s_delay_alu instid0(VALU_DEP_1) | instskip(NEXT) | instid1(VALU_DEP_2)
	v_add_co_u32 v2, vcc_lo, s0, v0
	v_add_co_ci_u32_e32 v3, vcc_lo, s1, v1, vcc_lo
	v_add_co_u32 v0, vcc_lo, s2, v0
	v_add_co_ci_u32_e32 v1, vcc_lo, s3, v1, vcc_lo
	global_load_u16 v2, v[2:3], off
	s_waitcnt vmcnt(0)
	v_lshlrev_b32_e32 v2, 16, v2
	s_delay_alu instid0(VALU_DEP_1)
	v_cvt_f16_f32_e32 v2, v2
	global_store_b16 v[0:1], v2, off
.LBB25_2:
	s_nop 0
	s_sendmsg sendmsg(MSG_DEALLOC_VGPRS)
	s_endpgm
	.section	.rodata,"a",@progbits
	.p2align	6, 0x0
	.amdhsa_kernel _ZL21cpy_scalar_contiguousI14__hip_bfloat166__halfEvPKcPcl
		.amdhsa_group_segment_fixed_size 0
		.amdhsa_private_segment_fixed_size 0
		.amdhsa_kernarg_size 280
		.amdhsa_user_sgpr_count 15
		.amdhsa_user_sgpr_dispatch_ptr 0
		.amdhsa_user_sgpr_queue_ptr 0
		.amdhsa_user_sgpr_kernarg_segment_ptr 1
		.amdhsa_user_sgpr_dispatch_id 0
		.amdhsa_user_sgpr_private_segment_size 0
		.amdhsa_wavefront_size32 1
		.amdhsa_uses_dynamic_stack 0
		.amdhsa_enable_private_segment 0
		.amdhsa_system_sgpr_workgroup_id_x 1
		.amdhsa_system_sgpr_workgroup_id_y 0
		.amdhsa_system_sgpr_workgroup_id_z 0
		.amdhsa_system_sgpr_workgroup_info 0
		.amdhsa_system_vgpr_workitem_id 0
		.amdhsa_next_free_vgpr 4
		.amdhsa_next_free_sgpr 16
		.amdhsa_reserve_vcc 1
		.amdhsa_float_round_mode_32 0
		.amdhsa_float_round_mode_16_64 0
		.amdhsa_float_denorm_mode_32 3
		.amdhsa_float_denorm_mode_16_64 3
		.amdhsa_dx10_clamp 1
		.amdhsa_ieee_mode 1
		.amdhsa_fp16_overflow 0
		.amdhsa_workgroup_processor_mode 1
		.amdhsa_memory_ordered 1
		.amdhsa_forward_progress 0
		.amdhsa_shared_vgpr_count 0
		.amdhsa_exception_fp_ieee_invalid_op 0
		.amdhsa_exception_fp_denorm_src 0
		.amdhsa_exception_fp_ieee_div_zero 0
		.amdhsa_exception_fp_ieee_overflow 0
		.amdhsa_exception_fp_ieee_underflow 0
		.amdhsa_exception_fp_ieee_inexact 0
		.amdhsa_exception_int_div_zero 0
	.end_amdhsa_kernel
	.section	.text._ZL21cpy_scalar_contiguousI14__hip_bfloat166__halfEvPKcPcl,"axG",@progbits,_ZL21cpy_scalar_contiguousI14__hip_bfloat166__halfEvPKcPcl,comdat
.Lfunc_end25:
	.size	_ZL21cpy_scalar_contiguousI14__hip_bfloat166__halfEvPKcPcl, .Lfunc_end25-_ZL21cpy_scalar_contiguousI14__hip_bfloat166__halfEvPKcPcl
                                        ; -- End function
	.section	.AMDGPU.csdata,"",@progbits
; Kernel info:
; codeLenInByte = 156
; NumSgprs: 18
; NumVgprs: 4
; ScratchSize: 0
; MemoryBound: 0
; FloatMode: 240
; IeeeMode: 1
; LDSByteSize: 0 bytes/workgroup (compile time only)
; SGPRBlocks: 2
; VGPRBlocks: 0
; NumSGPRsForWavesPerEU: 18
; NumVGPRsForWavesPerEU: 4
; Occupancy: 16
; WaveLimiterHint : 0
; COMPUTE_PGM_RSRC2:SCRATCH_EN: 0
; COMPUTE_PGM_RSRC2:USER_SGPR: 15
; COMPUTE_PGM_RSRC2:TRAP_HANDLER: 0
; COMPUTE_PGM_RSRC2:TGID_X_EN: 1
; COMPUTE_PGM_RSRC2:TGID_Y_EN: 0
; COMPUTE_PGM_RSRC2:TGID_Z_EN: 0
; COMPUTE_PGM_RSRC2:TIDIG_COMP_CNT: 0
	.section	.text._ZL10cpy_scalarIXadL_ZL12cpy_1_scalarI14__hip_bfloat166__halfEvPKcPcEEEvS4_S5_lllllllllllllll,"axG",@progbits,_ZL10cpy_scalarIXadL_ZL12cpy_1_scalarI14__hip_bfloat166__halfEvPKcPcEEEvS4_S5_lllllllllllllll,comdat
	.globl	_ZL10cpy_scalarIXadL_ZL12cpy_1_scalarI14__hip_bfloat166__halfEvPKcPcEEEvS4_S5_lllllllllllllll ; -- Begin function _ZL10cpy_scalarIXadL_ZL12cpy_1_scalarI14__hip_bfloat166__halfEvPKcPcEEEvS4_S5_lllllllllllllll
	.p2align	8
	.type	_ZL10cpy_scalarIXadL_ZL12cpy_1_scalarI14__hip_bfloat166__halfEvPKcPcEEEvS4_S5_lllllllllllllll,@function
_ZL10cpy_scalarIXadL_ZL12cpy_1_scalarI14__hip_bfloat166__halfEvPKcPcEEEvS4_S5_lllllllllllllll: ; @_ZL10cpy_scalarIXadL_ZL12cpy_1_scalarI14__hip_bfloat166__halfEvPKcPcEEEvS4_S5_lllllllllllllll
; %bb.0:
	s_clause 0x1
	s_load_b32 s2, s[0:1], 0x94
	s_load_b512 s[16:31], s[0:1], 0x0
	v_mov_b32_e32 v2, 0
	s_delay_alu instid0(VALU_DEP_1)
	v_mov_b32_e32 v1, v2
	s_waitcnt lgkmcnt(0)
	s_and_b32 s2, s2, 0xffff
	s_delay_alu instid0(VALU_DEP_1) | instid1(SALU_CYCLE_1)
	v_mad_u64_u32 v[4:5], null, s2, s15, v[0:1]
	s_mov_b32 s2, exec_lo
	s_delay_alu instid0(VALU_DEP_1)
	v_cmpx_gt_i64_e64 s[20:21], v[4:5]
	s_cbranch_execz .LBB26_26
; %bb.1:
	s_mul_i32 s2, s24, s23
	s_mul_hi_u32 s3, s24, s22
	v_ashrrev_i32_e32 v10, 31, v5
	s_add_i32 s8, s3, s2
	s_mul_i32 s3, s24, s22
	s_mul_i32 s2, s25, s22
	;; [unrolled: 1-line block ×3, first 2 shown]
	s_mul_hi_u32 s5, s3, s26
	s_add_i32 s8, s8, s2
	s_add_i32 s2, s5, s4
	s_mul_i32 s4, s8, s26
	s_mul_i32 s10, s3, s26
	s_add_i32 s9, s2, s4
                                        ; implicit-def: $vgpr0_vgpr1
	s_mov_b32 s2, exec_lo
	v_or_b32_e32 v3, s9, v5
	s_delay_alu instid0(VALU_DEP_1)
	v_cmpx_ne_u64_e32 0, v[2:3]
	s_xor_b32 s11, exec_lo, s2
	s_cbranch_execz .LBB26_3
; %bb.2:
	s_ashr_i32 s4, s9, 31
	s_delay_alu instid0(SALU_CYCLE_1) | instskip(SKIP_2) | instid1(SALU_CYCLE_1)
	s_add_u32 s6, s10, s4
	s_mov_b32 s5, s4
	s_addc_u32 s7, s9, s4
	s_xor_b64 s[6:7], s[6:7], s[4:5]
	s_delay_alu instid0(SALU_CYCLE_1) | instskip(SKIP_3) | instid1(VALU_DEP_1)
	v_cvt_f32_u32_e32 v0, s6
	v_cvt_f32_u32_e32 v1, s7
	s_sub_u32 s2, 0, s6
	s_subb_u32 s5, 0, s7
	v_fmamk_f32 v0, v1, 0x4f800000, v0
	s_delay_alu instid0(VALU_DEP_1) | instskip(SKIP_2) | instid1(VALU_DEP_1)
	v_rcp_f32_e32 v0, v0
	s_waitcnt_depctr 0xfff
	v_mul_f32_e32 v0, 0x5f7ffffc, v0
	v_mul_f32_e32 v1, 0x2f800000, v0
	s_delay_alu instid0(VALU_DEP_1) | instskip(NEXT) | instid1(VALU_DEP_1)
	v_trunc_f32_e32 v1, v1
	v_fmamk_f32 v0, v1, 0xcf800000, v0
	v_cvt_u32_f32_e32 v1, v1
	s_delay_alu instid0(VALU_DEP_2) | instskip(NEXT) | instid1(VALU_DEP_2)
	v_cvt_u32_f32_e32 v0, v0
	v_mul_lo_u32 v2, s2, v1
	s_delay_alu instid0(VALU_DEP_2) | instskip(SKIP_1) | instid1(VALU_DEP_2)
	v_mul_hi_u32 v3, s2, v0
	v_mul_lo_u32 v6, s5, v0
	v_add_nc_u32_e32 v2, v3, v2
	v_mul_lo_u32 v3, s2, v0
	s_delay_alu instid0(VALU_DEP_2) | instskip(NEXT) | instid1(VALU_DEP_2)
	v_add_nc_u32_e32 v2, v2, v6
	v_mul_hi_u32 v6, v0, v3
	s_delay_alu instid0(VALU_DEP_2)
	v_mul_lo_u32 v7, v0, v2
	v_mul_hi_u32 v8, v0, v2
	v_mul_hi_u32 v9, v1, v3
	v_mul_lo_u32 v3, v1, v3
	v_mul_hi_u32 v11, v1, v2
	v_mul_lo_u32 v2, v1, v2
	v_add_co_u32 v6, vcc_lo, v6, v7
	v_add_co_ci_u32_e32 v7, vcc_lo, 0, v8, vcc_lo
	s_delay_alu instid0(VALU_DEP_2) | instskip(NEXT) | instid1(VALU_DEP_2)
	v_add_co_u32 v3, vcc_lo, v6, v3
	v_add_co_ci_u32_e32 v3, vcc_lo, v7, v9, vcc_lo
	v_add_co_ci_u32_e32 v6, vcc_lo, 0, v11, vcc_lo
	s_delay_alu instid0(VALU_DEP_2) | instskip(NEXT) | instid1(VALU_DEP_2)
	v_add_co_u32 v2, vcc_lo, v3, v2
	v_add_co_ci_u32_e32 v3, vcc_lo, 0, v6, vcc_lo
	s_delay_alu instid0(VALU_DEP_2) | instskip(NEXT) | instid1(VALU_DEP_2)
	v_add_co_u32 v0, vcc_lo, v0, v2
	v_add_co_ci_u32_e32 v1, vcc_lo, v1, v3, vcc_lo
	s_delay_alu instid0(VALU_DEP_2) | instskip(SKIP_1) | instid1(VALU_DEP_3)
	v_mul_hi_u32 v2, s2, v0
	v_mul_lo_u32 v6, s5, v0
	v_mul_lo_u32 v3, s2, v1
	s_delay_alu instid0(VALU_DEP_1) | instskip(SKIP_1) | instid1(VALU_DEP_2)
	v_add_nc_u32_e32 v2, v2, v3
	v_mul_lo_u32 v3, s2, v0
	v_add_nc_u32_e32 v2, v2, v6
	s_delay_alu instid0(VALU_DEP_2) | instskip(NEXT) | instid1(VALU_DEP_2)
	v_mul_hi_u32 v6, v0, v3
	v_mul_lo_u32 v7, v0, v2
	v_mul_hi_u32 v8, v0, v2
	v_mul_hi_u32 v9, v1, v3
	v_mul_lo_u32 v3, v1, v3
	v_mul_hi_u32 v11, v1, v2
	v_mul_lo_u32 v2, v1, v2
	v_add_co_u32 v6, vcc_lo, v6, v7
	v_add_co_ci_u32_e32 v7, vcc_lo, 0, v8, vcc_lo
	s_delay_alu instid0(VALU_DEP_2) | instskip(NEXT) | instid1(VALU_DEP_2)
	v_add_co_u32 v3, vcc_lo, v6, v3
	v_add_co_ci_u32_e32 v3, vcc_lo, v7, v9, vcc_lo
	v_add_co_ci_u32_e32 v6, vcc_lo, 0, v11, vcc_lo
	v_add_co_u32 v7, vcc_lo, v4, v10
	v_add_co_ci_u32_e32 v8, vcc_lo, v5, v10, vcc_lo
	s_delay_alu instid0(VALU_DEP_4) | instskip(NEXT) | instid1(VALU_DEP_4)
	v_add_co_u32 v2, vcc_lo, v3, v2
	v_add_co_ci_u32_e32 v3, vcc_lo, 0, v6, vcc_lo
	s_delay_alu instid0(VALU_DEP_4) | instskip(NEXT) | instid1(VALU_DEP_3)
	v_xor_b32_e32 v9, v7, v10
	v_add_co_u32 v6, vcc_lo, v0, v2
	s_delay_alu instid0(VALU_DEP_3) | instskip(SKIP_1) | instid1(VALU_DEP_3)
	v_add_co_ci_u32_e32 v11, vcc_lo, v1, v3, vcc_lo
	v_xor_b32_e32 v8, v8, v10
	v_mul_hi_u32 v12, v9, v6
	s_delay_alu instid0(VALU_DEP_3) | instskip(NEXT) | instid1(VALU_DEP_3)
	v_mad_u64_u32 v[0:1], null, v9, v11, 0
	v_mad_u64_u32 v[2:3], null, v8, v6, 0
	;; [unrolled: 1-line block ×3, first 2 shown]
	s_delay_alu instid0(VALU_DEP_3) | instskip(NEXT) | instid1(VALU_DEP_4)
	v_add_co_u32 v0, vcc_lo, v12, v0
	v_add_co_ci_u32_e32 v1, vcc_lo, 0, v1, vcc_lo
	s_delay_alu instid0(VALU_DEP_2) | instskip(NEXT) | instid1(VALU_DEP_2)
	v_add_co_u32 v0, vcc_lo, v0, v2
	v_add_co_ci_u32_e32 v0, vcc_lo, v1, v3, vcc_lo
	v_add_co_ci_u32_e32 v1, vcc_lo, 0, v7, vcc_lo
	s_delay_alu instid0(VALU_DEP_2) | instskip(NEXT) | instid1(VALU_DEP_2)
	v_add_co_u32 v2, vcc_lo, v0, v6
	v_add_co_ci_u32_e32 v3, vcc_lo, 0, v1, vcc_lo
	s_delay_alu instid0(VALU_DEP_2) | instskip(SKIP_1) | instid1(VALU_DEP_3)
	v_mul_lo_u32 v6, s7, v2
	v_mad_u64_u32 v[0:1], null, s6, v2, 0
	v_mul_lo_u32 v7, s6, v3
	s_delay_alu instid0(VALU_DEP_2) | instskip(NEXT) | instid1(VALU_DEP_2)
	v_sub_co_u32 v0, vcc_lo, v9, v0
	v_add3_u32 v1, v1, v7, v6
	s_delay_alu instid0(VALU_DEP_1) | instskip(NEXT) | instid1(VALU_DEP_1)
	v_sub_nc_u32_e32 v6, v8, v1
	v_subrev_co_ci_u32_e64 v6, s2, s7, v6, vcc_lo
	v_add_co_u32 v7, s2, v2, 2
	s_delay_alu instid0(VALU_DEP_1) | instskip(SKIP_3) | instid1(VALU_DEP_3)
	v_add_co_ci_u32_e64 v9, s2, 0, v3, s2
	v_sub_co_u32 v11, s2, v0, s6
	v_sub_co_ci_u32_e32 v1, vcc_lo, v8, v1, vcc_lo
	v_subrev_co_ci_u32_e64 v6, s2, 0, v6, s2
	v_cmp_le_u32_e32 vcc_lo, s6, v11
	s_delay_alu instid0(VALU_DEP_3) | instskip(SKIP_1) | instid1(VALU_DEP_4)
	v_cmp_eq_u32_e64 s2, s7, v1
	v_cndmask_b32_e64 v8, 0, -1, vcc_lo
	v_cmp_le_u32_e32 vcc_lo, s7, v6
	v_cndmask_b32_e64 v11, 0, -1, vcc_lo
	v_cmp_le_u32_e32 vcc_lo, s6, v0
	;; [unrolled: 2-line block ×3, first 2 shown]
	v_cndmask_b32_e64 v12, 0, -1, vcc_lo
	v_cmp_eq_u32_e32 vcc_lo, s7, v6
	s_delay_alu instid0(VALU_DEP_2) | instskip(SKIP_3) | instid1(VALU_DEP_3)
	v_cndmask_b32_e64 v0, v12, v0, s2
	v_cndmask_b32_e32 v6, v11, v8, vcc_lo
	v_add_co_u32 v8, vcc_lo, v2, 1
	v_add_co_ci_u32_e32 v11, vcc_lo, 0, v3, vcc_lo
	v_cmp_ne_u32_e32 vcc_lo, 0, v6
	s_delay_alu instid0(VALU_DEP_2) | instskip(SKIP_2) | instid1(VALU_DEP_3)
	v_dual_cndmask_b32 v1, v11, v9 :: v_dual_cndmask_b32 v6, v8, v7
	v_cmp_ne_u32_e32 vcc_lo, 0, v0
	v_xor_b32_e32 v7, s4, v10
	v_dual_cndmask_b32 v0, v3, v1 :: v_dual_cndmask_b32 v1, v2, v6
	s_delay_alu instid0(VALU_DEP_1) | instskip(NEXT) | instid1(VALU_DEP_2)
	v_xor_b32_e32 v2, v0, v7
	v_xor_b32_e32 v1, v1, v7
	s_delay_alu instid0(VALU_DEP_1) | instskip(NEXT) | instid1(VALU_DEP_3)
	v_sub_co_u32 v0, vcc_lo, v1, v7
	v_sub_co_ci_u32_e32 v1, vcc_lo, v2, v7, vcc_lo
.LBB26_3:
	s_and_not1_saveexec_b32 s2, s11
	s_cbranch_execz .LBB26_5
; %bb.4:
	v_cvt_f32_u32_e32 v0, s10
	s_sub_i32 s4, 0, s10
	s_delay_alu instid0(VALU_DEP_1) | instskip(SKIP_2) | instid1(VALU_DEP_1)
	v_rcp_iflag_f32_e32 v0, v0
	s_waitcnt_depctr 0xfff
	v_mul_f32_e32 v0, 0x4f7ffffe, v0
	v_cvt_u32_f32_e32 v0, v0
	s_delay_alu instid0(VALU_DEP_1) | instskip(NEXT) | instid1(VALU_DEP_1)
	v_mul_lo_u32 v1, s4, v0
	v_mul_hi_u32 v1, v0, v1
	s_delay_alu instid0(VALU_DEP_1) | instskip(NEXT) | instid1(VALU_DEP_1)
	v_add_nc_u32_e32 v0, v0, v1
	v_mul_hi_u32 v0, v4, v0
	s_delay_alu instid0(VALU_DEP_1) | instskip(SKIP_1) | instid1(VALU_DEP_2)
	v_mul_lo_u32 v1, v0, s10
	v_add_nc_u32_e32 v2, 1, v0
	v_sub_nc_u32_e32 v1, v4, v1
	s_delay_alu instid0(VALU_DEP_1) | instskip(SKIP_1) | instid1(VALU_DEP_2)
	v_subrev_nc_u32_e32 v3, s10, v1
	v_cmp_le_u32_e32 vcc_lo, s10, v1
	v_dual_cndmask_b32 v1, v1, v3 :: v_dual_cndmask_b32 v0, v0, v2
	s_delay_alu instid0(VALU_DEP_1) | instskip(NEXT) | instid1(VALU_DEP_2)
	v_cmp_le_u32_e32 vcc_lo, s10, v1
	v_dual_mov_b32 v1, 0 :: v_dual_add_nc_u32 v2, 1, v0
	s_delay_alu instid0(VALU_DEP_1)
	v_cndmask_b32_e32 v0, v0, v2, vcc_lo
.LBB26_5:
	s_or_b32 exec_lo, exec_lo, s2
	s_delay_alu instid0(VALU_DEP_1) | instskip(NEXT) | instid1(VALU_DEP_2)
	v_mul_lo_u32 v6, s9, v0
	v_mul_lo_u32 v7, s10, v1
	v_mad_u64_u32 v[2:3], null, s10, v0, 0
	s_delay_alu instid0(VALU_DEP_1) | instskip(NEXT) | instid1(VALU_DEP_2)
	v_add3_u32 v3, v3, v7, v6
	v_sub_co_u32 v6, vcc_lo, v4, v2
	v_mov_b32_e32 v2, 0
	s_delay_alu instid0(VALU_DEP_3) | instskip(NEXT) | instid1(VALU_DEP_1)
	v_sub_co_ci_u32_e32 v7, vcc_lo, v5, v3, vcc_lo
	v_or_b32_e32 v3, s8, v7
	s_delay_alu instid0(VALU_DEP_1) | instskip(SKIP_1) | instid1(SALU_CYCLE_1)
	v_cmp_ne_u64_e32 vcc_lo, 0, v[2:3]
                                        ; implicit-def: $vgpr2_vgpr3
	s_and_saveexec_b32 s2, vcc_lo
	s_xor_b32 s9, exec_lo, s2
	s_cbranch_execz .LBB26_7
; %bb.6:
	s_ashr_i32 s4, s8, 31
	s_delay_alu instid0(SALU_CYCLE_1) | instskip(SKIP_2) | instid1(SALU_CYCLE_1)
	s_add_u32 s6, s3, s4
	s_mov_b32 s5, s4
	s_addc_u32 s7, s8, s4
	s_xor_b64 s[6:7], s[6:7], s[4:5]
	s_delay_alu instid0(SALU_CYCLE_1) | instskip(SKIP_3) | instid1(VALU_DEP_1)
	v_cvt_f32_u32_e32 v2, s6
	v_cvt_f32_u32_e32 v3, s7
	s_sub_u32 s2, 0, s6
	s_subb_u32 s5, 0, s7
	v_fmamk_f32 v2, v3, 0x4f800000, v2
	s_delay_alu instid0(VALU_DEP_1) | instskip(SKIP_2) | instid1(VALU_DEP_1)
	v_rcp_f32_e32 v2, v2
	s_waitcnt_depctr 0xfff
	v_mul_f32_e32 v2, 0x5f7ffffc, v2
	v_mul_f32_e32 v3, 0x2f800000, v2
	s_delay_alu instid0(VALU_DEP_1) | instskip(NEXT) | instid1(VALU_DEP_1)
	v_trunc_f32_e32 v3, v3
	v_fmamk_f32 v2, v3, 0xcf800000, v2
	v_cvt_u32_f32_e32 v3, v3
	s_delay_alu instid0(VALU_DEP_2) | instskip(NEXT) | instid1(VALU_DEP_2)
	v_cvt_u32_f32_e32 v2, v2
	v_mul_lo_u32 v8, s2, v3
	s_delay_alu instid0(VALU_DEP_2) | instskip(SKIP_1) | instid1(VALU_DEP_2)
	v_mul_hi_u32 v9, s2, v2
	v_mul_lo_u32 v11, s5, v2
	v_add_nc_u32_e32 v8, v9, v8
	v_mul_lo_u32 v9, s2, v2
	s_delay_alu instid0(VALU_DEP_2) | instskip(NEXT) | instid1(VALU_DEP_2)
	v_add_nc_u32_e32 v8, v8, v11
	v_mul_hi_u32 v11, v2, v9
	s_delay_alu instid0(VALU_DEP_2)
	v_mul_lo_u32 v12, v2, v8
	v_mul_hi_u32 v13, v2, v8
	v_mul_hi_u32 v14, v3, v9
	v_mul_lo_u32 v9, v3, v9
	v_mul_hi_u32 v15, v3, v8
	v_mul_lo_u32 v8, v3, v8
	v_add_co_u32 v11, vcc_lo, v11, v12
	v_add_co_ci_u32_e32 v12, vcc_lo, 0, v13, vcc_lo
	s_delay_alu instid0(VALU_DEP_2) | instskip(NEXT) | instid1(VALU_DEP_2)
	v_add_co_u32 v9, vcc_lo, v11, v9
	v_add_co_ci_u32_e32 v9, vcc_lo, v12, v14, vcc_lo
	v_add_co_ci_u32_e32 v11, vcc_lo, 0, v15, vcc_lo
	v_ashrrev_i32_e32 v14, 31, v7
	s_delay_alu instid0(VALU_DEP_3) | instskip(NEXT) | instid1(VALU_DEP_3)
	v_add_co_u32 v8, vcc_lo, v9, v8
	v_add_co_ci_u32_e32 v9, vcc_lo, 0, v11, vcc_lo
	s_delay_alu instid0(VALU_DEP_2) | instskip(NEXT) | instid1(VALU_DEP_2)
	v_add_co_u32 v2, vcc_lo, v2, v8
	v_add_co_ci_u32_e32 v3, vcc_lo, v3, v9, vcc_lo
	s_delay_alu instid0(VALU_DEP_2) | instskip(SKIP_1) | instid1(VALU_DEP_3)
	v_mul_hi_u32 v8, s2, v2
	v_mul_lo_u32 v11, s5, v2
	v_mul_lo_u32 v9, s2, v3
	s_delay_alu instid0(VALU_DEP_1) | instskip(SKIP_1) | instid1(VALU_DEP_2)
	v_add_nc_u32_e32 v8, v8, v9
	v_mul_lo_u32 v9, s2, v2
	v_add_nc_u32_e32 v8, v8, v11
	s_delay_alu instid0(VALU_DEP_2) | instskip(NEXT) | instid1(VALU_DEP_2)
	v_mul_hi_u32 v11, v2, v9
	v_mul_lo_u32 v12, v2, v8
	v_mul_hi_u32 v13, v2, v8
	v_mul_hi_u32 v15, v3, v9
	v_mul_lo_u32 v9, v3, v9
	v_mul_hi_u32 v16, v3, v8
	v_mul_lo_u32 v8, v3, v8
	v_add_co_u32 v11, vcc_lo, v11, v12
	v_add_co_ci_u32_e32 v12, vcc_lo, 0, v13, vcc_lo
	s_delay_alu instid0(VALU_DEP_2) | instskip(NEXT) | instid1(VALU_DEP_2)
	v_add_co_u32 v9, vcc_lo, v11, v9
	v_add_co_ci_u32_e32 v9, vcc_lo, v12, v15, vcc_lo
	v_add_co_ci_u32_e32 v11, vcc_lo, 0, v16, vcc_lo
	v_add_co_u32 v12, vcc_lo, v6, v14
	v_add_co_ci_u32_e32 v13, vcc_lo, v7, v14, vcc_lo
	s_delay_alu instid0(VALU_DEP_4) | instskip(NEXT) | instid1(VALU_DEP_4)
	v_add_co_u32 v8, vcc_lo, v9, v8
	v_add_co_ci_u32_e32 v9, vcc_lo, 0, v11, vcc_lo
	s_delay_alu instid0(VALU_DEP_4) | instskip(NEXT) | instid1(VALU_DEP_3)
	v_xor_b32_e32 v15, v12, v14
	v_add_co_u32 v11, vcc_lo, v2, v8
	s_delay_alu instid0(VALU_DEP_3) | instskip(SKIP_1) | instid1(VALU_DEP_3)
	v_add_co_ci_u32_e32 v16, vcc_lo, v3, v9, vcc_lo
	v_xor_b32_e32 v13, v13, v14
	v_mul_hi_u32 v17, v15, v11
	s_delay_alu instid0(VALU_DEP_3) | instskip(NEXT) | instid1(VALU_DEP_3)
	v_mad_u64_u32 v[2:3], null, v15, v16, 0
	v_mad_u64_u32 v[8:9], null, v13, v11, 0
	;; [unrolled: 1-line block ×3, first 2 shown]
	s_delay_alu instid0(VALU_DEP_3) | instskip(NEXT) | instid1(VALU_DEP_4)
	v_add_co_u32 v2, vcc_lo, v17, v2
	v_add_co_ci_u32_e32 v3, vcc_lo, 0, v3, vcc_lo
	s_delay_alu instid0(VALU_DEP_2) | instskip(NEXT) | instid1(VALU_DEP_2)
	v_add_co_u32 v2, vcc_lo, v2, v8
	v_add_co_ci_u32_e32 v2, vcc_lo, v3, v9, vcc_lo
	v_add_co_ci_u32_e32 v3, vcc_lo, 0, v12, vcc_lo
	s_delay_alu instid0(VALU_DEP_2) | instskip(NEXT) | instid1(VALU_DEP_2)
	v_add_co_u32 v8, vcc_lo, v2, v11
	v_add_co_ci_u32_e32 v9, vcc_lo, 0, v3, vcc_lo
	s_delay_alu instid0(VALU_DEP_2) | instskip(SKIP_1) | instid1(VALU_DEP_3)
	v_mul_lo_u32 v11, s7, v8
	v_mad_u64_u32 v[2:3], null, s6, v8, 0
	v_mul_lo_u32 v12, s6, v9
	s_delay_alu instid0(VALU_DEP_2) | instskip(NEXT) | instid1(VALU_DEP_2)
	v_sub_co_u32 v2, vcc_lo, v15, v2
	v_add3_u32 v3, v3, v12, v11
	s_delay_alu instid0(VALU_DEP_1) | instskip(NEXT) | instid1(VALU_DEP_1)
	v_sub_nc_u32_e32 v11, v13, v3
	v_subrev_co_ci_u32_e64 v11, s2, s7, v11, vcc_lo
	v_add_co_u32 v12, s2, v8, 2
	s_delay_alu instid0(VALU_DEP_1) | instskip(SKIP_3) | instid1(VALU_DEP_3)
	v_add_co_ci_u32_e64 v15, s2, 0, v9, s2
	v_sub_co_u32 v16, s2, v2, s6
	v_sub_co_ci_u32_e32 v3, vcc_lo, v13, v3, vcc_lo
	v_subrev_co_ci_u32_e64 v11, s2, 0, v11, s2
	v_cmp_le_u32_e32 vcc_lo, s6, v16
	s_delay_alu instid0(VALU_DEP_3) | instskip(SKIP_1) | instid1(VALU_DEP_4)
	v_cmp_eq_u32_e64 s2, s7, v3
	v_cndmask_b32_e64 v13, 0, -1, vcc_lo
	v_cmp_le_u32_e32 vcc_lo, s7, v11
	v_cndmask_b32_e64 v16, 0, -1, vcc_lo
	v_cmp_le_u32_e32 vcc_lo, s6, v2
	;; [unrolled: 2-line block ×3, first 2 shown]
	v_cndmask_b32_e64 v17, 0, -1, vcc_lo
	v_cmp_eq_u32_e32 vcc_lo, s7, v11
	s_delay_alu instid0(VALU_DEP_2) | instskip(SKIP_3) | instid1(VALU_DEP_3)
	v_cndmask_b32_e64 v2, v17, v2, s2
	v_cndmask_b32_e32 v11, v16, v13, vcc_lo
	v_add_co_u32 v13, vcc_lo, v8, 1
	v_add_co_ci_u32_e32 v16, vcc_lo, 0, v9, vcc_lo
	v_cmp_ne_u32_e32 vcc_lo, 0, v11
	s_delay_alu instid0(VALU_DEP_3) | instskip(NEXT) | instid1(VALU_DEP_3)
	v_cndmask_b32_e32 v11, v13, v12, vcc_lo
	v_cndmask_b32_e32 v3, v16, v15, vcc_lo
	v_cmp_ne_u32_e32 vcc_lo, 0, v2
	v_xor_b32_e32 v12, s4, v14
	s_delay_alu instid0(VALU_DEP_3) | instskip(SKIP_1) | instid1(VALU_DEP_2)
	v_cndmask_b32_e32 v2, v9, v3, vcc_lo
	v_cndmask_b32_e32 v3, v8, v11, vcc_lo
	v_xor_b32_e32 v8, v2, v12
	s_delay_alu instid0(VALU_DEP_2) | instskip(NEXT) | instid1(VALU_DEP_1)
	v_xor_b32_e32 v3, v3, v12
	v_sub_co_u32 v2, vcc_lo, v3, v12
	s_delay_alu instid0(VALU_DEP_3)
	v_sub_co_ci_u32_e32 v3, vcc_lo, v8, v12, vcc_lo
.LBB26_7:
	s_and_not1_saveexec_b32 s2, s9
	s_cbranch_execz .LBB26_9
; %bb.8:
	v_cvt_f32_u32_e32 v2, s3
	s_sub_i32 s4, 0, s3
	s_delay_alu instid0(VALU_DEP_1) | instskip(SKIP_2) | instid1(VALU_DEP_1)
	v_rcp_iflag_f32_e32 v2, v2
	s_waitcnt_depctr 0xfff
	v_mul_f32_e32 v2, 0x4f7ffffe, v2
	v_cvt_u32_f32_e32 v2, v2
	s_delay_alu instid0(VALU_DEP_1) | instskip(NEXT) | instid1(VALU_DEP_1)
	v_mul_lo_u32 v3, s4, v2
	v_mul_hi_u32 v3, v2, v3
	s_delay_alu instid0(VALU_DEP_1) | instskip(NEXT) | instid1(VALU_DEP_1)
	v_add_nc_u32_e32 v2, v2, v3
	v_mul_hi_u32 v2, v6, v2
	s_delay_alu instid0(VALU_DEP_1) | instskip(SKIP_1) | instid1(VALU_DEP_2)
	v_mul_lo_u32 v3, v2, s3
	v_add_nc_u32_e32 v8, 1, v2
	v_sub_nc_u32_e32 v3, v6, v3
	s_delay_alu instid0(VALU_DEP_1) | instskip(SKIP_1) | instid1(VALU_DEP_2)
	v_subrev_nc_u32_e32 v9, s3, v3
	v_cmp_le_u32_e32 vcc_lo, s3, v3
	v_dual_cndmask_b32 v3, v3, v9 :: v_dual_cndmask_b32 v2, v2, v8
	s_delay_alu instid0(VALU_DEP_1) | instskip(NEXT) | instid1(VALU_DEP_2)
	v_cmp_le_u32_e32 vcc_lo, s3, v3
	v_dual_mov_b32 v3, 0 :: v_dual_add_nc_u32 v8, 1, v2
	s_delay_alu instid0(VALU_DEP_1)
	v_cndmask_b32_e32 v2, v2, v8, vcc_lo
.LBB26_9:
	s_or_b32 exec_lo, exec_lo, s2
	s_delay_alu instid0(VALU_DEP_1) | instskip(NEXT) | instid1(VALU_DEP_2)
	v_mul_lo_u32 v11, s8, v2
	v_mul_lo_u32 v12, s3, v3
	v_mad_u64_u32 v[8:9], null, s3, v2, 0
	s_delay_alu instid0(VALU_DEP_1) | instskip(NEXT) | instid1(VALU_DEP_2)
	v_add3_u32 v9, v9, v12, v11
	v_sub_co_u32 v12, vcc_lo, v6, v8
	v_mov_b32_e32 v6, 0
	s_delay_alu instid0(VALU_DEP_3) | instskip(NEXT) | instid1(VALU_DEP_1)
	v_sub_co_ci_u32_e32 v13, vcc_lo, v7, v9, vcc_lo
	v_or_b32_e32 v7, s23, v13
	s_delay_alu instid0(VALU_DEP_1) | instskip(SKIP_1) | instid1(SALU_CYCLE_1)
	v_cmp_ne_u64_e32 vcc_lo, 0, v[6:7]
                                        ; implicit-def: $vgpr6_vgpr7
	s_and_saveexec_b32 s2, vcc_lo
	s_xor_b32 s3, exec_lo, s2
	s_cbranch_execz .LBB26_11
; %bb.10:
	s_ashr_i32 s4, s23, 31
	s_delay_alu instid0(SALU_CYCLE_1) | instskip(SKIP_2) | instid1(SALU_CYCLE_1)
	s_add_u32 s6, s22, s4
	s_mov_b32 s5, s4
	s_addc_u32 s7, s23, s4
	s_xor_b64 s[6:7], s[6:7], s[4:5]
	s_delay_alu instid0(SALU_CYCLE_1) | instskip(SKIP_3) | instid1(VALU_DEP_1)
	v_cvt_f32_u32_e32 v6, s6
	v_cvt_f32_u32_e32 v7, s7
	s_sub_u32 s2, 0, s6
	s_subb_u32 s5, 0, s7
	v_fmamk_f32 v6, v7, 0x4f800000, v6
	s_delay_alu instid0(VALU_DEP_1) | instskip(SKIP_2) | instid1(VALU_DEP_1)
	v_rcp_f32_e32 v6, v6
	s_waitcnt_depctr 0xfff
	v_mul_f32_e32 v6, 0x5f7ffffc, v6
	v_mul_f32_e32 v7, 0x2f800000, v6
	s_delay_alu instid0(VALU_DEP_1) | instskip(NEXT) | instid1(VALU_DEP_1)
	v_trunc_f32_e32 v7, v7
	v_fmamk_f32 v6, v7, 0xcf800000, v6
	v_cvt_u32_f32_e32 v7, v7
	s_delay_alu instid0(VALU_DEP_2) | instskip(NEXT) | instid1(VALU_DEP_2)
	v_cvt_u32_f32_e32 v6, v6
	v_mul_lo_u32 v8, s2, v7
	s_delay_alu instid0(VALU_DEP_2) | instskip(SKIP_1) | instid1(VALU_DEP_2)
	v_mul_hi_u32 v9, s2, v6
	v_mul_lo_u32 v11, s5, v6
	v_add_nc_u32_e32 v8, v9, v8
	v_mul_lo_u32 v9, s2, v6
	s_delay_alu instid0(VALU_DEP_2) | instskip(NEXT) | instid1(VALU_DEP_2)
	v_add_nc_u32_e32 v8, v8, v11
	v_mul_hi_u32 v11, v6, v9
	s_delay_alu instid0(VALU_DEP_2)
	v_mul_lo_u32 v14, v6, v8
	v_mul_hi_u32 v15, v6, v8
	v_mul_hi_u32 v16, v7, v9
	v_mul_lo_u32 v9, v7, v9
	v_mul_hi_u32 v17, v7, v8
	v_mul_lo_u32 v8, v7, v8
	v_add_co_u32 v11, vcc_lo, v11, v14
	v_add_co_ci_u32_e32 v14, vcc_lo, 0, v15, vcc_lo
	s_delay_alu instid0(VALU_DEP_2) | instskip(NEXT) | instid1(VALU_DEP_2)
	v_add_co_u32 v9, vcc_lo, v11, v9
	v_add_co_ci_u32_e32 v9, vcc_lo, v14, v16, vcc_lo
	v_add_co_ci_u32_e32 v11, vcc_lo, 0, v17, vcc_lo
	v_ashrrev_i32_e32 v16, 31, v13
	s_delay_alu instid0(VALU_DEP_3) | instskip(NEXT) | instid1(VALU_DEP_3)
	v_add_co_u32 v8, vcc_lo, v9, v8
	v_add_co_ci_u32_e32 v9, vcc_lo, 0, v11, vcc_lo
	s_delay_alu instid0(VALU_DEP_2) | instskip(NEXT) | instid1(VALU_DEP_2)
	v_add_co_u32 v6, vcc_lo, v6, v8
	v_add_co_ci_u32_e32 v7, vcc_lo, v7, v9, vcc_lo
	s_delay_alu instid0(VALU_DEP_2) | instskip(SKIP_1) | instid1(VALU_DEP_3)
	v_mul_hi_u32 v8, s2, v6
	v_mul_lo_u32 v11, s5, v6
	v_mul_lo_u32 v9, s2, v7
	s_delay_alu instid0(VALU_DEP_1) | instskip(SKIP_1) | instid1(VALU_DEP_2)
	v_add_nc_u32_e32 v8, v8, v9
	v_mul_lo_u32 v9, s2, v6
	v_add_nc_u32_e32 v8, v8, v11
	s_delay_alu instid0(VALU_DEP_2) | instskip(NEXT) | instid1(VALU_DEP_2)
	v_mul_hi_u32 v11, v6, v9
	v_mul_lo_u32 v14, v6, v8
	v_mul_hi_u32 v15, v6, v8
	v_mul_hi_u32 v17, v7, v9
	v_mul_lo_u32 v9, v7, v9
	v_mul_hi_u32 v18, v7, v8
	v_mul_lo_u32 v8, v7, v8
	v_add_co_u32 v11, vcc_lo, v11, v14
	v_add_co_ci_u32_e32 v14, vcc_lo, 0, v15, vcc_lo
	s_delay_alu instid0(VALU_DEP_2) | instskip(NEXT) | instid1(VALU_DEP_2)
	v_add_co_u32 v9, vcc_lo, v11, v9
	v_add_co_ci_u32_e32 v9, vcc_lo, v14, v17, vcc_lo
	v_add_co_ci_u32_e32 v11, vcc_lo, 0, v18, vcc_lo
	v_add_co_u32 v14, vcc_lo, v12, v16
	v_add_co_ci_u32_e32 v15, vcc_lo, v13, v16, vcc_lo
	s_delay_alu instid0(VALU_DEP_4) | instskip(NEXT) | instid1(VALU_DEP_4)
	v_add_co_u32 v8, vcc_lo, v9, v8
	v_add_co_ci_u32_e32 v9, vcc_lo, 0, v11, vcc_lo
	s_delay_alu instid0(VALU_DEP_4) | instskip(NEXT) | instid1(VALU_DEP_3)
	v_xor_b32_e32 v11, v14, v16
	v_add_co_u32 v14, vcc_lo, v6, v8
	s_delay_alu instid0(VALU_DEP_3) | instskip(SKIP_1) | instid1(VALU_DEP_3)
	v_add_co_ci_u32_e32 v17, vcc_lo, v7, v9, vcc_lo
	v_xor_b32_e32 v18, v15, v16
	v_mul_hi_u32 v19, v11, v14
	s_delay_alu instid0(VALU_DEP_3) | instskip(NEXT) | instid1(VALU_DEP_3)
	v_mad_u64_u32 v[6:7], null, v11, v17, 0
	v_mad_u64_u32 v[8:9], null, v18, v14, 0
	;; [unrolled: 1-line block ×3, first 2 shown]
	s_delay_alu instid0(VALU_DEP_3) | instskip(NEXT) | instid1(VALU_DEP_4)
	v_add_co_u32 v6, vcc_lo, v19, v6
	v_add_co_ci_u32_e32 v7, vcc_lo, 0, v7, vcc_lo
	s_delay_alu instid0(VALU_DEP_2) | instskip(NEXT) | instid1(VALU_DEP_2)
	v_add_co_u32 v6, vcc_lo, v6, v8
	v_add_co_ci_u32_e32 v6, vcc_lo, v7, v9, vcc_lo
	v_add_co_ci_u32_e32 v7, vcc_lo, 0, v15, vcc_lo
	s_delay_alu instid0(VALU_DEP_2) | instskip(NEXT) | instid1(VALU_DEP_2)
	v_add_co_u32 v8, vcc_lo, v6, v14
	v_add_co_ci_u32_e32 v9, vcc_lo, 0, v7, vcc_lo
	s_delay_alu instid0(VALU_DEP_2) | instskip(SKIP_1) | instid1(VALU_DEP_3)
	v_mul_lo_u32 v14, s7, v8
	v_mad_u64_u32 v[6:7], null, s6, v8, 0
	v_mul_lo_u32 v15, s6, v9
	s_delay_alu instid0(VALU_DEP_2) | instskip(NEXT) | instid1(VALU_DEP_2)
	v_sub_co_u32 v6, vcc_lo, v11, v6
	v_add3_u32 v7, v7, v15, v14
	s_delay_alu instid0(VALU_DEP_1) | instskip(NEXT) | instid1(VALU_DEP_1)
	v_sub_nc_u32_e32 v14, v18, v7
	v_subrev_co_ci_u32_e64 v11, s2, s7, v14, vcc_lo
	v_add_co_u32 v14, s2, v8, 2
	s_delay_alu instid0(VALU_DEP_1) | instskip(SKIP_3) | instid1(VALU_DEP_3)
	v_add_co_ci_u32_e64 v15, s2, 0, v9, s2
	v_sub_co_u32 v17, s2, v6, s6
	v_sub_co_ci_u32_e32 v7, vcc_lo, v18, v7, vcc_lo
	v_subrev_co_ci_u32_e64 v11, s2, 0, v11, s2
	v_cmp_le_u32_e32 vcc_lo, s6, v17
	s_delay_alu instid0(VALU_DEP_3) | instskip(SKIP_1) | instid1(VALU_DEP_4)
	v_cmp_eq_u32_e64 s2, s7, v7
	v_cndmask_b32_e64 v17, 0, -1, vcc_lo
	v_cmp_le_u32_e32 vcc_lo, s7, v11
	v_cndmask_b32_e64 v18, 0, -1, vcc_lo
	v_cmp_le_u32_e32 vcc_lo, s6, v6
	;; [unrolled: 2-line block ×3, first 2 shown]
	v_cndmask_b32_e64 v19, 0, -1, vcc_lo
	v_cmp_eq_u32_e32 vcc_lo, s7, v11
	s_delay_alu instid0(VALU_DEP_2) | instskip(SKIP_3) | instid1(VALU_DEP_3)
	v_cndmask_b32_e64 v6, v19, v6, s2
	v_cndmask_b32_e32 v11, v18, v17, vcc_lo
	v_add_co_u32 v17, vcc_lo, v8, 1
	v_add_co_ci_u32_e32 v18, vcc_lo, 0, v9, vcc_lo
	v_cmp_ne_u32_e32 vcc_lo, 0, v11
	s_delay_alu instid0(VALU_DEP_3) | instskip(NEXT) | instid1(VALU_DEP_3)
	v_cndmask_b32_e32 v11, v17, v14, vcc_lo
	v_cndmask_b32_e32 v7, v18, v15, vcc_lo
	v_cmp_ne_u32_e32 vcc_lo, 0, v6
	v_xor_b32_e32 v14, s4, v16
	s_delay_alu instid0(VALU_DEP_3) | instskip(SKIP_1) | instid1(VALU_DEP_2)
	v_cndmask_b32_e32 v6, v9, v7, vcc_lo
	v_cndmask_b32_e32 v7, v8, v11, vcc_lo
	v_xor_b32_e32 v8, v6, v14
	s_delay_alu instid0(VALU_DEP_2) | instskip(NEXT) | instid1(VALU_DEP_1)
	v_xor_b32_e32 v7, v7, v14
	v_sub_co_u32 v6, vcc_lo, v7, v14
	s_delay_alu instid0(VALU_DEP_3)
	v_sub_co_ci_u32_e32 v7, vcc_lo, v8, v14, vcc_lo
.LBB26_11:
	s_and_not1_saveexec_b32 s2, s3
	s_cbranch_execz .LBB26_13
; %bb.12:
	v_cvt_f32_u32_e32 v6, s22
	s_sub_i32 s3, 0, s22
	s_delay_alu instid0(VALU_DEP_1) | instskip(SKIP_2) | instid1(VALU_DEP_1)
	v_rcp_iflag_f32_e32 v6, v6
	s_waitcnt_depctr 0xfff
	v_mul_f32_e32 v6, 0x4f7ffffe, v6
	v_cvt_u32_f32_e32 v6, v6
	s_delay_alu instid0(VALU_DEP_1) | instskip(NEXT) | instid1(VALU_DEP_1)
	v_mul_lo_u32 v7, s3, v6
	v_mul_hi_u32 v7, v6, v7
	s_delay_alu instid0(VALU_DEP_1) | instskip(NEXT) | instid1(VALU_DEP_1)
	v_add_nc_u32_e32 v6, v6, v7
	v_mul_hi_u32 v6, v12, v6
	s_delay_alu instid0(VALU_DEP_1) | instskip(SKIP_1) | instid1(VALU_DEP_2)
	v_mul_lo_u32 v7, v6, s22
	v_add_nc_u32_e32 v8, 1, v6
	v_sub_nc_u32_e32 v7, v12, v7
	s_delay_alu instid0(VALU_DEP_1) | instskip(SKIP_1) | instid1(VALU_DEP_2)
	v_subrev_nc_u32_e32 v9, s22, v7
	v_cmp_le_u32_e32 vcc_lo, s22, v7
	v_dual_cndmask_b32 v7, v7, v9 :: v_dual_cndmask_b32 v6, v6, v8
	s_delay_alu instid0(VALU_DEP_1) | instskip(NEXT) | instid1(VALU_DEP_2)
	v_cmp_le_u32_e32 vcc_lo, s22, v7
	v_dual_mov_b32 v7, 0 :: v_dual_add_nc_u32 v8, 1, v6
	s_delay_alu instid0(VALU_DEP_1)
	v_cndmask_b32_e32 v6, v6, v8, vcc_lo
.LBB26_13:
	s_or_b32 exec_lo, exec_lo, s2
	s_load_b512 s[36:51], s[0:1], 0x40
	v_mov_b32_e32 v8, 0
	s_waitcnt lgkmcnt(0)
	s_mul_i32 s2, s42, s41
	s_mul_hi_u32 s4, s42, s40
	s_mul_i32 s5, s43, s40
	s_mul_i32 s3, s42, s40
	s_add_i32 s8, s4, s2
	s_mul_i32 s2, s3, s45
	s_mul_hi_u32 s4, s3, s44
	s_add_i32 s8, s8, s5
	s_add_i32 s2, s4, s2
	s_mul_i32 s4, s8, s44
	s_mul_i32 s10, s3, s44
	s_add_i32 s9, s2, s4
	s_delay_alu instid0(SALU_CYCLE_1) | instskip(NEXT) | instid1(VALU_DEP_1)
	v_or_b32_e32 v9, s9, v5
	v_cmp_ne_u64_e32 vcc_lo, 0, v[8:9]
                                        ; implicit-def: $vgpr8_vgpr9
	s_and_saveexec_b32 s2, vcc_lo
	s_delay_alu instid0(SALU_CYCLE_1)
	s_xor_b32 s11, exec_lo, s2
	s_cbranch_execz .LBB26_15
; %bb.14:
	s_ashr_i32 s4, s9, 31
	s_delay_alu instid0(SALU_CYCLE_1) | instskip(SKIP_2) | instid1(SALU_CYCLE_1)
	s_add_u32 s6, s10, s4
	s_mov_b32 s5, s4
	s_addc_u32 s7, s9, s4
	s_xor_b64 s[6:7], s[6:7], s[4:5]
	s_delay_alu instid0(SALU_CYCLE_1) | instskip(SKIP_3) | instid1(VALU_DEP_1)
	v_cvt_f32_u32_e32 v8, s6
	v_cvt_f32_u32_e32 v9, s7
	s_sub_u32 s2, 0, s6
	s_subb_u32 s5, 0, s7
	v_fmamk_f32 v8, v9, 0x4f800000, v8
	s_delay_alu instid0(VALU_DEP_1) | instskip(SKIP_2) | instid1(VALU_DEP_1)
	v_rcp_f32_e32 v8, v8
	s_waitcnt_depctr 0xfff
	v_mul_f32_e32 v8, 0x5f7ffffc, v8
	v_mul_f32_e32 v9, 0x2f800000, v8
	s_delay_alu instid0(VALU_DEP_1) | instskip(NEXT) | instid1(VALU_DEP_1)
	v_trunc_f32_e32 v9, v9
	v_fmamk_f32 v8, v9, 0xcf800000, v8
	v_cvt_u32_f32_e32 v9, v9
	s_delay_alu instid0(VALU_DEP_2) | instskip(NEXT) | instid1(VALU_DEP_2)
	v_cvt_u32_f32_e32 v8, v8
	v_mul_lo_u32 v11, s2, v9
	s_delay_alu instid0(VALU_DEP_2) | instskip(SKIP_1) | instid1(VALU_DEP_2)
	v_mul_hi_u32 v14, s2, v8
	v_mul_lo_u32 v15, s5, v8
	v_add_nc_u32_e32 v11, v14, v11
	v_mul_lo_u32 v14, s2, v8
	s_delay_alu instid0(VALU_DEP_2) | instskip(NEXT) | instid1(VALU_DEP_2)
	v_add_nc_u32_e32 v11, v11, v15
	v_mul_hi_u32 v15, v8, v14
	s_delay_alu instid0(VALU_DEP_2)
	v_mul_lo_u32 v16, v8, v11
	v_mul_hi_u32 v17, v8, v11
	v_mul_hi_u32 v18, v9, v14
	v_mul_lo_u32 v14, v9, v14
	v_mul_hi_u32 v19, v9, v11
	v_mul_lo_u32 v11, v9, v11
	v_add_co_u32 v15, vcc_lo, v15, v16
	v_add_co_ci_u32_e32 v16, vcc_lo, 0, v17, vcc_lo
	s_delay_alu instid0(VALU_DEP_2) | instskip(NEXT) | instid1(VALU_DEP_2)
	v_add_co_u32 v14, vcc_lo, v15, v14
	v_add_co_ci_u32_e32 v14, vcc_lo, v16, v18, vcc_lo
	v_add_co_ci_u32_e32 v15, vcc_lo, 0, v19, vcc_lo
	s_delay_alu instid0(VALU_DEP_2) | instskip(NEXT) | instid1(VALU_DEP_2)
	v_add_co_u32 v11, vcc_lo, v14, v11
	v_add_co_ci_u32_e32 v14, vcc_lo, 0, v15, vcc_lo
	s_delay_alu instid0(VALU_DEP_2) | instskip(NEXT) | instid1(VALU_DEP_2)
	v_add_co_u32 v8, vcc_lo, v8, v11
	v_add_co_ci_u32_e32 v9, vcc_lo, v9, v14, vcc_lo
	s_delay_alu instid0(VALU_DEP_2) | instskip(SKIP_1) | instid1(VALU_DEP_3)
	v_mul_hi_u32 v11, s2, v8
	v_mul_lo_u32 v15, s5, v8
	v_mul_lo_u32 v14, s2, v9
	s_delay_alu instid0(VALU_DEP_1) | instskip(SKIP_1) | instid1(VALU_DEP_2)
	v_add_nc_u32_e32 v11, v11, v14
	v_mul_lo_u32 v14, s2, v8
	v_add_nc_u32_e32 v11, v11, v15
	s_delay_alu instid0(VALU_DEP_2) | instskip(NEXT) | instid1(VALU_DEP_2)
	v_mul_hi_u32 v15, v8, v14
	v_mul_lo_u32 v16, v8, v11
	v_mul_hi_u32 v17, v8, v11
	v_mul_hi_u32 v18, v9, v14
	v_mul_lo_u32 v14, v9, v14
	v_mul_hi_u32 v19, v9, v11
	v_mul_lo_u32 v11, v9, v11
	v_add_co_u32 v15, vcc_lo, v15, v16
	v_add_co_ci_u32_e32 v16, vcc_lo, 0, v17, vcc_lo
	s_delay_alu instid0(VALU_DEP_2) | instskip(NEXT) | instid1(VALU_DEP_2)
	v_add_co_u32 v14, vcc_lo, v15, v14
	v_add_co_ci_u32_e32 v14, vcc_lo, v16, v18, vcc_lo
	v_add_co_ci_u32_e32 v15, vcc_lo, 0, v19, vcc_lo
	v_add_co_u32 v16, vcc_lo, v4, v10
	v_add_co_ci_u32_e32 v17, vcc_lo, v5, v10, vcc_lo
	s_delay_alu instid0(VALU_DEP_4) | instskip(NEXT) | instid1(VALU_DEP_4)
	v_add_co_u32 v11, vcc_lo, v14, v11
	v_add_co_ci_u32_e32 v14, vcc_lo, 0, v15, vcc_lo
	s_delay_alu instid0(VALU_DEP_4) | instskip(NEXT) | instid1(VALU_DEP_3)
	v_xor_b32_e32 v18, v16, v10
	v_add_co_u32 v11, vcc_lo, v8, v11
	s_delay_alu instid0(VALU_DEP_3) | instskip(SKIP_1) | instid1(VALU_DEP_3)
	v_add_co_ci_u32_e32 v19, vcc_lo, v9, v14, vcc_lo
	v_xor_b32_e32 v20, v17, v10
	v_mul_hi_u32 v21, v18, v11
	v_xor_b32_e32 v10, s4, v10
	s_delay_alu instid0(VALU_DEP_4) | instskip(NEXT) | instid1(VALU_DEP_4)
	v_mad_u64_u32 v[8:9], null, v18, v19, 0
	v_mad_u64_u32 v[14:15], null, v20, v11, 0
	;; [unrolled: 1-line block ×3, first 2 shown]
	s_delay_alu instid0(VALU_DEP_3) | instskip(NEXT) | instid1(VALU_DEP_4)
	v_add_co_u32 v8, vcc_lo, v21, v8
	v_add_co_ci_u32_e32 v9, vcc_lo, 0, v9, vcc_lo
	s_delay_alu instid0(VALU_DEP_2) | instskip(NEXT) | instid1(VALU_DEP_2)
	v_add_co_u32 v8, vcc_lo, v8, v14
	v_add_co_ci_u32_e32 v8, vcc_lo, v9, v15, vcc_lo
	v_add_co_ci_u32_e32 v9, vcc_lo, 0, v17, vcc_lo
	s_delay_alu instid0(VALU_DEP_2) | instskip(NEXT) | instid1(VALU_DEP_2)
	v_add_co_u32 v11, vcc_lo, v8, v16
	v_add_co_ci_u32_e32 v14, vcc_lo, 0, v9, vcc_lo
	s_delay_alu instid0(VALU_DEP_2) | instskip(SKIP_1) | instid1(VALU_DEP_3)
	v_mul_lo_u32 v15, s7, v11
	v_mad_u64_u32 v[8:9], null, s6, v11, 0
	v_mul_lo_u32 v16, s6, v14
	s_delay_alu instid0(VALU_DEP_2) | instskip(NEXT) | instid1(VALU_DEP_2)
	v_sub_co_u32 v8, vcc_lo, v18, v8
	v_add3_u32 v9, v9, v16, v15
	s_delay_alu instid0(VALU_DEP_1) | instskip(NEXT) | instid1(VALU_DEP_1)
	v_sub_nc_u32_e32 v15, v20, v9
	v_subrev_co_ci_u32_e64 v15, s2, s7, v15, vcc_lo
	v_add_co_u32 v16, s2, v11, 2
	s_delay_alu instid0(VALU_DEP_1) | instskip(SKIP_3) | instid1(VALU_DEP_3)
	v_add_co_ci_u32_e64 v17, s2, 0, v14, s2
	v_sub_co_u32 v18, s2, v8, s6
	v_sub_co_ci_u32_e32 v9, vcc_lo, v20, v9, vcc_lo
	v_subrev_co_ci_u32_e64 v15, s2, 0, v15, s2
	v_cmp_le_u32_e32 vcc_lo, s6, v18
	s_delay_alu instid0(VALU_DEP_3) | instskip(SKIP_1) | instid1(VALU_DEP_4)
	v_cmp_eq_u32_e64 s2, s7, v9
	v_cndmask_b32_e64 v18, 0, -1, vcc_lo
	v_cmp_le_u32_e32 vcc_lo, s7, v15
	v_cndmask_b32_e64 v19, 0, -1, vcc_lo
	v_cmp_le_u32_e32 vcc_lo, s6, v8
	;; [unrolled: 2-line block ×3, first 2 shown]
	v_cndmask_b32_e64 v20, 0, -1, vcc_lo
	v_cmp_eq_u32_e32 vcc_lo, s7, v15
	s_delay_alu instid0(VALU_DEP_2) | instskip(SKIP_3) | instid1(VALU_DEP_3)
	v_cndmask_b32_e64 v8, v20, v8, s2
	v_cndmask_b32_e32 v15, v19, v18, vcc_lo
	v_add_co_u32 v18, vcc_lo, v11, 1
	v_add_co_ci_u32_e32 v19, vcc_lo, 0, v14, vcc_lo
	v_cmp_ne_u32_e32 vcc_lo, 0, v15
	s_delay_alu instid0(VALU_DEP_2) | instskip(NEXT) | instid1(VALU_DEP_4)
	v_cndmask_b32_e32 v9, v19, v17, vcc_lo
	v_cndmask_b32_e32 v15, v18, v16, vcc_lo
	v_cmp_ne_u32_e32 vcc_lo, 0, v8
	s_delay_alu instid0(VALU_DEP_2) | instskip(NEXT) | instid1(VALU_DEP_1)
	v_dual_cndmask_b32 v8, v14, v9 :: v_dual_cndmask_b32 v9, v11, v15
	v_xor_b32_e32 v11, v8, v10
	s_delay_alu instid0(VALU_DEP_2) | instskip(NEXT) | instid1(VALU_DEP_1)
	v_xor_b32_e32 v9, v9, v10
	v_sub_co_u32 v8, vcc_lo, v9, v10
	s_delay_alu instid0(VALU_DEP_3)
	v_sub_co_ci_u32_e32 v9, vcc_lo, v11, v10, vcc_lo
.LBB26_15:
	s_and_not1_saveexec_b32 s2, s11
	s_cbranch_execz .LBB26_17
; %bb.16:
	v_cvt_f32_u32_e32 v8, s10
	s_sub_i32 s4, 0, s10
	s_delay_alu instid0(VALU_DEP_1) | instskip(SKIP_2) | instid1(VALU_DEP_1)
	v_rcp_iflag_f32_e32 v8, v8
	s_waitcnt_depctr 0xfff
	v_mul_f32_e32 v8, 0x4f7ffffe, v8
	v_cvt_u32_f32_e32 v8, v8
	s_delay_alu instid0(VALU_DEP_1) | instskip(NEXT) | instid1(VALU_DEP_1)
	v_mul_lo_u32 v9, s4, v8
	v_mul_hi_u32 v9, v8, v9
	s_delay_alu instid0(VALU_DEP_1) | instskip(NEXT) | instid1(VALU_DEP_1)
	v_add_nc_u32_e32 v8, v8, v9
	v_mul_hi_u32 v8, v4, v8
	s_delay_alu instid0(VALU_DEP_1) | instskip(SKIP_1) | instid1(VALU_DEP_2)
	v_mul_lo_u32 v9, v8, s10
	v_add_nc_u32_e32 v10, 1, v8
	v_sub_nc_u32_e32 v9, v4, v9
	s_delay_alu instid0(VALU_DEP_1) | instskip(SKIP_1) | instid1(VALU_DEP_2)
	v_subrev_nc_u32_e32 v11, s10, v9
	v_cmp_le_u32_e32 vcc_lo, s10, v9
	v_dual_cndmask_b32 v9, v9, v11 :: v_dual_cndmask_b32 v8, v8, v10
	s_delay_alu instid0(VALU_DEP_1) | instskip(NEXT) | instid1(VALU_DEP_2)
	v_cmp_le_u32_e32 vcc_lo, s10, v9
	v_dual_mov_b32 v9, 0 :: v_dual_add_nc_u32 v10, 1, v8
	s_delay_alu instid0(VALU_DEP_1)
	v_cndmask_b32_e32 v8, v8, v10, vcc_lo
.LBB26_17:
	s_or_b32 exec_lo, exec_lo, s2
	s_delay_alu instid0(VALU_DEP_1) | instskip(NEXT) | instid1(VALU_DEP_2)
	v_mul_lo_u32 v14, s9, v8
	v_mul_lo_u32 v15, s10, v9
	v_mad_u64_u32 v[10:11], null, s10, v8, 0
	s_delay_alu instid0(VALU_DEP_1) | instskip(NEXT) | instid1(VALU_DEP_2)
	v_add3_u32 v11, v11, v15, v14
	v_sub_co_u32 v10, vcc_lo, v4, v10
	v_mov_b32_e32 v4, 0
	s_delay_alu instid0(VALU_DEP_3) | instskip(NEXT) | instid1(VALU_DEP_1)
	v_sub_co_ci_u32_e32 v11, vcc_lo, v5, v11, vcc_lo
	v_or_b32_e32 v5, s8, v11
	s_delay_alu instid0(VALU_DEP_1) | instskip(SKIP_1) | instid1(SALU_CYCLE_1)
	v_cmp_ne_u64_e32 vcc_lo, 0, v[4:5]
                                        ; implicit-def: $vgpr4_vgpr5
	s_and_saveexec_b32 s2, vcc_lo
	s_xor_b32 s9, exec_lo, s2
	s_cbranch_execz .LBB26_19
; %bb.18:
	s_ashr_i32 s4, s8, 31
	s_delay_alu instid0(SALU_CYCLE_1) | instskip(SKIP_2) | instid1(SALU_CYCLE_1)
	s_add_u32 s6, s3, s4
	s_mov_b32 s5, s4
	s_addc_u32 s7, s8, s4
	s_xor_b64 s[6:7], s[6:7], s[4:5]
	s_delay_alu instid0(SALU_CYCLE_1) | instskip(SKIP_3) | instid1(VALU_DEP_1)
	v_cvt_f32_u32_e32 v4, s6
	v_cvt_f32_u32_e32 v5, s7
	s_sub_u32 s2, 0, s6
	s_subb_u32 s5, 0, s7
	v_fmamk_f32 v4, v5, 0x4f800000, v4
	s_delay_alu instid0(VALU_DEP_1) | instskip(SKIP_2) | instid1(VALU_DEP_1)
	v_rcp_f32_e32 v4, v4
	s_waitcnt_depctr 0xfff
	v_mul_f32_e32 v4, 0x5f7ffffc, v4
	v_mul_f32_e32 v5, 0x2f800000, v4
	s_delay_alu instid0(VALU_DEP_1) | instskip(NEXT) | instid1(VALU_DEP_1)
	v_trunc_f32_e32 v5, v5
	v_fmamk_f32 v4, v5, 0xcf800000, v4
	v_cvt_u32_f32_e32 v5, v5
	s_delay_alu instid0(VALU_DEP_2) | instskip(NEXT) | instid1(VALU_DEP_2)
	v_cvt_u32_f32_e32 v4, v4
	v_mul_lo_u32 v14, s2, v5
	s_delay_alu instid0(VALU_DEP_2) | instskip(SKIP_1) | instid1(VALU_DEP_2)
	v_mul_hi_u32 v15, s2, v4
	v_mul_lo_u32 v16, s5, v4
	v_add_nc_u32_e32 v14, v15, v14
	v_mul_lo_u32 v15, s2, v4
	s_delay_alu instid0(VALU_DEP_2) | instskip(NEXT) | instid1(VALU_DEP_2)
	v_add_nc_u32_e32 v14, v14, v16
	v_mul_hi_u32 v16, v4, v15
	s_delay_alu instid0(VALU_DEP_2)
	v_mul_lo_u32 v17, v4, v14
	v_mul_hi_u32 v18, v4, v14
	v_mul_hi_u32 v19, v5, v15
	v_mul_lo_u32 v15, v5, v15
	v_mul_hi_u32 v20, v5, v14
	v_mul_lo_u32 v14, v5, v14
	v_add_co_u32 v16, vcc_lo, v16, v17
	v_add_co_ci_u32_e32 v17, vcc_lo, 0, v18, vcc_lo
	s_delay_alu instid0(VALU_DEP_2) | instskip(NEXT) | instid1(VALU_DEP_2)
	v_add_co_u32 v15, vcc_lo, v16, v15
	v_add_co_ci_u32_e32 v15, vcc_lo, v17, v19, vcc_lo
	v_add_co_ci_u32_e32 v16, vcc_lo, 0, v20, vcc_lo
	v_ashrrev_i32_e32 v19, 31, v11
	s_delay_alu instid0(VALU_DEP_3) | instskip(NEXT) | instid1(VALU_DEP_3)
	v_add_co_u32 v14, vcc_lo, v15, v14
	v_add_co_ci_u32_e32 v15, vcc_lo, 0, v16, vcc_lo
	s_delay_alu instid0(VALU_DEP_2) | instskip(NEXT) | instid1(VALU_DEP_2)
	v_add_co_u32 v4, vcc_lo, v4, v14
	v_add_co_ci_u32_e32 v5, vcc_lo, v5, v15, vcc_lo
	s_delay_alu instid0(VALU_DEP_2) | instskip(SKIP_1) | instid1(VALU_DEP_3)
	v_mul_hi_u32 v14, s2, v4
	v_mul_lo_u32 v16, s5, v4
	v_mul_lo_u32 v15, s2, v5
	s_delay_alu instid0(VALU_DEP_1) | instskip(SKIP_1) | instid1(VALU_DEP_2)
	v_add_nc_u32_e32 v14, v14, v15
	v_mul_lo_u32 v15, s2, v4
	v_add_nc_u32_e32 v14, v14, v16
	s_delay_alu instid0(VALU_DEP_2) | instskip(NEXT) | instid1(VALU_DEP_2)
	v_mul_hi_u32 v16, v4, v15
	v_mul_lo_u32 v17, v4, v14
	v_mul_hi_u32 v18, v4, v14
	v_mul_hi_u32 v20, v5, v15
	v_mul_lo_u32 v15, v5, v15
	v_mul_hi_u32 v21, v5, v14
	v_mul_lo_u32 v14, v5, v14
	v_add_co_u32 v16, vcc_lo, v16, v17
	v_add_co_ci_u32_e32 v17, vcc_lo, 0, v18, vcc_lo
	s_delay_alu instid0(VALU_DEP_2) | instskip(NEXT) | instid1(VALU_DEP_2)
	v_add_co_u32 v15, vcc_lo, v16, v15
	v_add_co_ci_u32_e32 v15, vcc_lo, v17, v20, vcc_lo
	v_add_co_ci_u32_e32 v16, vcc_lo, 0, v21, vcc_lo
	v_add_co_u32 v17, vcc_lo, v10, v19
	v_add_co_ci_u32_e32 v18, vcc_lo, v11, v19, vcc_lo
	s_delay_alu instid0(VALU_DEP_4) | instskip(NEXT) | instid1(VALU_DEP_4)
	v_add_co_u32 v14, vcc_lo, v15, v14
	v_add_co_ci_u32_e32 v15, vcc_lo, 0, v16, vcc_lo
	s_delay_alu instid0(VALU_DEP_4) | instskip(NEXT) | instid1(VALU_DEP_3)
	v_xor_b32_e32 v20, v17, v19
	v_add_co_u32 v16, vcc_lo, v4, v14
	s_delay_alu instid0(VALU_DEP_3) | instskip(SKIP_1) | instid1(VALU_DEP_3)
	v_add_co_ci_u32_e32 v21, vcc_lo, v5, v15, vcc_lo
	v_xor_b32_e32 v18, v18, v19
	v_mul_hi_u32 v22, v20, v16
	s_delay_alu instid0(VALU_DEP_3) | instskip(NEXT) | instid1(VALU_DEP_3)
	v_mad_u64_u32 v[4:5], null, v20, v21, 0
	v_mad_u64_u32 v[14:15], null, v18, v16, 0
	;; [unrolled: 1-line block ×3, first 2 shown]
	s_delay_alu instid0(VALU_DEP_3) | instskip(NEXT) | instid1(VALU_DEP_4)
	v_add_co_u32 v4, vcc_lo, v22, v4
	v_add_co_ci_u32_e32 v5, vcc_lo, 0, v5, vcc_lo
	s_delay_alu instid0(VALU_DEP_2) | instskip(NEXT) | instid1(VALU_DEP_2)
	v_add_co_u32 v4, vcc_lo, v4, v14
	v_add_co_ci_u32_e32 v4, vcc_lo, v5, v15, vcc_lo
	v_add_co_ci_u32_e32 v5, vcc_lo, 0, v17, vcc_lo
	s_delay_alu instid0(VALU_DEP_2) | instskip(NEXT) | instid1(VALU_DEP_2)
	v_add_co_u32 v14, vcc_lo, v4, v16
	v_add_co_ci_u32_e32 v15, vcc_lo, 0, v5, vcc_lo
	s_delay_alu instid0(VALU_DEP_2) | instskip(SKIP_1) | instid1(VALU_DEP_3)
	v_mul_lo_u32 v16, s7, v14
	v_mad_u64_u32 v[4:5], null, s6, v14, 0
	v_mul_lo_u32 v17, s6, v15
	s_delay_alu instid0(VALU_DEP_2) | instskip(NEXT) | instid1(VALU_DEP_2)
	v_sub_co_u32 v4, vcc_lo, v20, v4
	v_add3_u32 v5, v5, v17, v16
	s_delay_alu instid0(VALU_DEP_1) | instskip(NEXT) | instid1(VALU_DEP_1)
	v_sub_nc_u32_e32 v16, v18, v5
	v_subrev_co_ci_u32_e64 v16, s2, s7, v16, vcc_lo
	v_add_co_u32 v17, s2, v14, 2
	s_delay_alu instid0(VALU_DEP_1) | instskip(SKIP_3) | instid1(VALU_DEP_3)
	v_add_co_ci_u32_e64 v20, s2, 0, v15, s2
	v_sub_co_u32 v21, s2, v4, s6
	v_sub_co_ci_u32_e32 v5, vcc_lo, v18, v5, vcc_lo
	v_subrev_co_ci_u32_e64 v16, s2, 0, v16, s2
	v_cmp_le_u32_e32 vcc_lo, s6, v21
	s_delay_alu instid0(VALU_DEP_3) | instskip(SKIP_1) | instid1(VALU_DEP_4)
	v_cmp_eq_u32_e64 s2, s7, v5
	v_cndmask_b32_e64 v18, 0, -1, vcc_lo
	v_cmp_le_u32_e32 vcc_lo, s7, v16
	v_cndmask_b32_e64 v21, 0, -1, vcc_lo
	v_cmp_le_u32_e32 vcc_lo, s6, v4
	;; [unrolled: 2-line block ×3, first 2 shown]
	v_cndmask_b32_e64 v22, 0, -1, vcc_lo
	v_cmp_eq_u32_e32 vcc_lo, s7, v16
	s_delay_alu instid0(VALU_DEP_2) | instskip(SKIP_3) | instid1(VALU_DEP_3)
	v_cndmask_b32_e64 v4, v22, v4, s2
	v_cndmask_b32_e32 v16, v21, v18, vcc_lo
	v_add_co_u32 v18, vcc_lo, v14, 1
	v_add_co_ci_u32_e32 v21, vcc_lo, 0, v15, vcc_lo
	v_cmp_ne_u32_e32 vcc_lo, 0, v16
	s_delay_alu instid0(VALU_DEP_2) | instskip(SKIP_2) | instid1(VALU_DEP_3)
	v_dual_cndmask_b32 v5, v21, v20 :: v_dual_cndmask_b32 v16, v18, v17
	v_cmp_ne_u32_e32 vcc_lo, 0, v4
	v_xor_b32_e32 v17, s4, v19
	v_dual_cndmask_b32 v4, v15, v5 :: v_dual_cndmask_b32 v5, v14, v16
	s_delay_alu instid0(VALU_DEP_1) | instskip(NEXT) | instid1(VALU_DEP_2)
	v_xor_b32_e32 v14, v4, v17
	v_xor_b32_e32 v5, v5, v17
	s_delay_alu instid0(VALU_DEP_1) | instskip(NEXT) | instid1(VALU_DEP_3)
	v_sub_co_u32 v4, vcc_lo, v5, v17
	v_sub_co_ci_u32_e32 v5, vcc_lo, v14, v17, vcc_lo
.LBB26_19:
	s_and_not1_saveexec_b32 s2, s9
	s_cbranch_execz .LBB26_21
; %bb.20:
	v_cvt_f32_u32_e32 v4, s3
	s_sub_i32 s4, 0, s3
	s_delay_alu instid0(VALU_DEP_1) | instskip(SKIP_2) | instid1(VALU_DEP_1)
	v_rcp_iflag_f32_e32 v4, v4
	s_waitcnt_depctr 0xfff
	v_mul_f32_e32 v4, 0x4f7ffffe, v4
	v_cvt_u32_f32_e32 v4, v4
	s_delay_alu instid0(VALU_DEP_1) | instskip(NEXT) | instid1(VALU_DEP_1)
	v_mul_lo_u32 v5, s4, v4
	v_mul_hi_u32 v5, v4, v5
	s_delay_alu instid0(VALU_DEP_1) | instskip(NEXT) | instid1(VALU_DEP_1)
	v_add_nc_u32_e32 v4, v4, v5
	v_mul_hi_u32 v4, v10, v4
	s_delay_alu instid0(VALU_DEP_1) | instskip(SKIP_1) | instid1(VALU_DEP_2)
	v_mul_lo_u32 v5, v4, s3
	v_add_nc_u32_e32 v14, 1, v4
	v_sub_nc_u32_e32 v5, v10, v5
	s_delay_alu instid0(VALU_DEP_1) | instskip(SKIP_1) | instid1(VALU_DEP_2)
	v_subrev_nc_u32_e32 v15, s3, v5
	v_cmp_le_u32_e32 vcc_lo, s3, v5
	v_dual_cndmask_b32 v5, v5, v15 :: v_dual_cndmask_b32 v4, v4, v14
	s_delay_alu instid0(VALU_DEP_1) | instskip(NEXT) | instid1(VALU_DEP_2)
	v_cmp_le_u32_e32 vcc_lo, s3, v5
	v_dual_mov_b32 v5, 0 :: v_dual_add_nc_u32 v14, 1, v4
	s_delay_alu instid0(VALU_DEP_1)
	v_cndmask_b32_e32 v4, v4, v14, vcc_lo
.LBB26_21:
	s_or_b32 exec_lo, exec_lo, s2
	s_delay_alu instid0(VALU_DEP_1) | instskip(NEXT) | instid1(VALU_DEP_2)
	v_mul_lo_u32 v16, s8, v4
	v_mul_lo_u32 v17, s3, v5
	v_mad_u64_u32 v[14:15], null, s3, v4, 0
	s_delay_alu instid0(VALU_DEP_1) | instskip(NEXT) | instid1(VALU_DEP_2)
	v_add3_u32 v15, v15, v17, v16
	v_sub_co_u32 v14, vcc_lo, v10, v14
	v_mov_b32_e32 v10, 0
	s_delay_alu instid0(VALU_DEP_3) | instskip(NEXT) | instid1(VALU_DEP_1)
	v_sub_co_ci_u32_e32 v15, vcc_lo, v11, v15, vcc_lo
	v_or_b32_e32 v11, s41, v15
	s_delay_alu instid0(VALU_DEP_1) | instskip(SKIP_1) | instid1(SALU_CYCLE_1)
	v_cmp_ne_u64_e32 vcc_lo, 0, v[10:11]
                                        ; implicit-def: $vgpr10_vgpr11
	s_and_saveexec_b32 s2, vcc_lo
	s_xor_b32 s3, exec_lo, s2
	s_cbranch_execz .LBB26_23
; %bb.22:
	s_ashr_i32 s4, s41, 31
	s_delay_alu instid0(SALU_CYCLE_1) | instskip(SKIP_2) | instid1(SALU_CYCLE_1)
	s_add_u32 s6, s40, s4
	s_mov_b32 s5, s4
	s_addc_u32 s7, s41, s4
	s_xor_b64 s[6:7], s[6:7], s[4:5]
	s_delay_alu instid0(SALU_CYCLE_1) | instskip(SKIP_3) | instid1(VALU_DEP_1)
	v_cvt_f32_u32_e32 v10, s6
	v_cvt_f32_u32_e32 v11, s7
	s_sub_u32 s2, 0, s6
	s_subb_u32 s5, 0, s7
	v_fmamk_f32 v10, v11, 0x4f800000, v10
	s_delay_alu instid0(VALU_DEP_1) | instskip(SKIP_2) | instid1(VALU_DEP_1)
	v_rcp_f32_e32 v10, v10
	s_waitcnt_depctr 0xfff
	v_mul_f32_e32 v10, 0x5f7ffffc, v10
	v_mul_f32_e32 v11, 0x2f800000, v10
	s_delay_alu instid0(VALU_DEP_1) | instskip(NEXT) | instid1(VALU_DEP_1)
	v_trunc_f32_e32 v11, v11
	v_fmamk_f32 v10, v11, 0xcf800000, v10
	v_cvt_u32_f32_e32 v11, v11
	s_delay_alu instid0(VALU_DEP_2) | instskip(NEXT) | instid1(VALU_DEP_2)
	v_cvt_u32_f32_e32 v10, v10
	v_mul_lo_u32 v16, s2, v11
	s_delay_alu instid0(VALU_DEP_2) | instskip(SKIP_1) | instid1(VALU_DEP_2)
	v_mul_hi_u32 v17, s2, v10
	v_mul_lo_u32 v18, s5, v10
	v_add_nc_u32_e32 v16, v17, v16
	v_mul_lo_u32 v17, s2, v10
	s_delay_alu instid0(VALU_DEP_2) | instskip(NEXT) | instid1(VALU_DEP_2)
	v_add_nc_u32_e32 v16, v16, v18
	v_mul_hi_u32 v18, v10, v17
	s_delay_alu instid0(VALU_DEP_2)
	v_mul_lo_u32 v19, v10, v16
	v_mul_hi_u32 v20, v10, v16
	v_mul_hi_u32 v21, v11, v17
	v_mul_lo_u32 v17, v11, v17
	v_mul_hi_u32 v22, v11, v16
	v_mul_lo_u32 v16, v11, v16
	v_add_co_u32 v18, vcc_lo, v18, v19
	v_add_co_ci_u32_e32 v19, vcc_lo, 0, v20, vcc_lo
	s_delay_alu instid0(VALU_DEP_2) | instskip(NEXT) | instid1(VALU_DEP_2)
	v_add_co_u32 v17, vcc_lo, v18, v17
	v_add_co_ci_u32_e32 v17, vcc_lo, v19, v21, vcc_lo
	v_add_co_ci_u32_e32 v18, vcc_lo, 0, v22, vcc_lo
	v_ashrrev_i32_e32 v21, 31, v15
	s_delay_alu instid0(VALU_DEP_3) | instskip(NEXT) | instid1(VALU_DEP_3)
	v_add_co_u32 v16, vcc_lo, v17, v16
	v_add_co_ci_u32_e32 v17, vcc_lo, 0, v18, vcc_lo
	s_delay_alu instid0(VALU_DEP_2) | instskip(NEXT) | instid1(VALU_DEP_2)
	v_add_co_u32 v10, vcc_lo, v10, v16
	v_add_co_ci_u32_e32 v11, vcc_lo, v11, v17, vcc_lo
	s_delay_alu instid0(VALU_DEP_2) | instskip(SKIP_1) | instid1(VALU_DEP_3)
	v_mul_hi_u32 v16, s2, v10
	v_mul_lo_u32 v18, s5, v10
	v_mul_lo_u32 v17, s2, v11
	s_delay_alu instid0(VALU_DEP_1) | instskip(SKIP_1) | instid1(VALU_DEP_2)
	v_add_nc_u32_e32 v16, v16, v17
	v_mul_lo_u32 v17, s2, v10
	v_add_nc_u32_e32 v16, v16, v18
	s_delay_alu instid0(VALU_DEP_2) | instskip(NEXT) | instid1(VALU_DEP_2)
	v_mul_hi_u32 v18, v10, v17
	v_mul_lo_u32 v19, v10, v16
	v_mul_hi_u32 v20, v10, v16
	v_mul_hi_u32 v22, v11, v17
	v_mul_lo_u32 v17, v11, v17
	v_mul_hi_u32 v23, v11, v16
	v_mul_lo_u32 v16, v11, v16
	v_add_co_u32 v18, vcc_lo, v18, v19
	v_add_co_ci_u32_e32 v19, vcc_lo, 0, v20, vcc_lo
	s_delay_alu instid0(VALU_DEP_2) | instskip(NEXT) | instid1(VALU_DEP_2)
	v_add_co_u32 v17, vcc_lo, v18, v17
	v_add_co_ci_u32_e32 v17, vcc_lo, v19, v22, vcc_lo
	v_add_co_ci_u32_e32 v18, vcc_lo, 0, v23, vcc_lo
	v_add_co_u32 v19, vcc_lo, v14, v21
	v_add_co_ci_u32_e32 v20, vcc_lo, v15, v21, vcc_lo
	s_delay_alu instid0(VALU_DEP_4) | instskip(NEXT) | instid1(VALU_DEP_4)
	v_add_co_u32 v16, vcc_lo, v17, v16
	v_add_co_ci_u32_e32 v17, vcc_lo, 0, v18, vcc_lo
	s_delay_alu instid0(VALU_DEP_4) | instskip(NEXT) | instid1(VALU_DEP_3)
	v_xor_b32_e32 v22, v19, v21
	v_add_co_u32 v18, vcc_lo, v10, v16
	s_delay_alu instid0(VALU_DEP_3) | instskip(SKIP_1) | instid1(VALU_DEP_3)
	v_add_co_ci_u32_e32 v23, vcc_lo, v11, v17, vcc_lo
	v_xor_b32_e32 v20, v20, v21
	v_mul_hi_u32 v24, v22, v18
	s_delay_alu instid0(VALU_DEP_3) | instskip(NEXT) | instid1(VALU_DEP_3)
	v_mad_u64_u32 v[10:11], null, v22, v23, 0
	v_mad_u64_u32 v[16:17], null, v20, v18, 0
	;; [unrolled: 1-line block ×3, first 2 shown]
	s_delay_alu instid0(VALU_DEP_3) | instskip(NEXT) | instid1(VALU_DEP_4)
	v_add_co_u32 v10, vcc_lo, v24, v10
	v_add_co_ci_u32_e32 v11, vcc_lo, 0, v11, vcc_lo
	s_delay_alu instid0(VALU_DEP_2) | instskip(NEXT) | instid1(VALU_DEP_2)
	v_add_co_u32 v10, vcc_lo, v10, v16
	v_add_co_ci_u32_e32 v10, vcc_lo, v11, v17, vcc_lo
	v_add_co_ci_u32_e32 v11, vcc_lo, 0, v19, vcc_lo
	s_delay_alu instid0(VALU_DEP_2) | instskip(NEXT) | instid1(VALU_DEP_2)
	v_add_co_u32 v16, vcc_lo, v10, v18
	v_add_co_ci_u32_e32 v17, vcc_lo, 0, v11, vcc_lo
	s_delay_alu instid0(VALU_DEP_2) | instskip(SKIP_1) | instid1(VALU_DEP_3)
	v_mul_lo_u32 v18, s7, v16
	v_mad_u64_u32 v[10:11], null, s6, v16, 0
	v_mul_lo_u32 v19, s6, v17
	s_delay_alu instid0(VALU_DEP_2) | instskip(NEXT) | instid1(VALU_DEP_2)
	v_sub_co_u32 v10, vcc_lo, v22, v10
	v_add3_u32 v11, v11, v19, v18
	s_delay_alu instid0(VALU_DEP_1) | instskip(NEXT) | instid1(VALU_DEP_1)
	v_sub_nc_u32_e32 v18, v20, v11
	v_subrev_co_ci_u32_e64 v18, s2, s7, v18, vcc_lo
	v_add_co_u32 v19, s2, v16, 2
	s_delay_alu instid0(VALU_DEP_1) | instskip(SKIP_3) | instid1(VALU_DEP_3)
	v_add_co_ci_u32_e64 v22, s2, 0, v17, s2
	v_sub_co_u32 v23, s2, v10, s6
	v_sub_co_ci_u32_e32 v11, vcc_lo, v20, v11, vcc_lo
	v_subrev_co_ci_u32_e64 v18, s2, 0, v18, s2
	v_cmp_le_u32_e32 vcc_lo, s6, v23
	s_delay_alu instid0(VALU_DEP_3) | instskip(SKIP_1) | instid1(VALU_DEP_4)
	v_cmp_eq_u32_e64 s2, s7, v11
	v_cndmask_b32_e64 v20, 0, -1, vcc_lo
	v_cmp_le_u32_e32 vcc_lo, s7, v18
	v_cndmask_b32_e64 v23, 0, -1, vcc_lo
	v_cmp_le_u32_e32 vcc_lo, s6, v10
	;; [unrolled: 2-line block ×3, first 2 shown]
	v_cndmask_b32_e64 v24, 0, -1, vcc_lo
	v_cmp_eq_u32_e32 vcc_lo, s7, v18
	s_delay_alu instid0(VALU_DEP_2) | instskip(SKIP_3) | instid1(VALU_DEP_3)
	v_cndmask_b32_e64 v10, v24, v10, s2
	v_cndmask_b32_e32 v18, v23, v20, vcc_lo
	v_add_co_u32 v20, vcc_lo, v16, 1
	v_add_co_ci_u32_e32 v23, vcc_lo, 0, v17, vcc_lo
	v_cmp_ne_u32_e32 vcc_lo, 0, v18
	s_delay_alu instid0(VALU_DEP_2) | instskip(SKIP_2) | instid1(VALU_DEP_3)
	v_dual_cndmask_b32 v11, v23, v22 :: v_dual_cndmask_b32 v18, v20, v19
	v_cmp_ne_u32_e32 vcc_lo, 0, v10
	v_xor_b32_e32 v19, s4, v21
	v_dual_cndmask_b32 v10, v17, v11 :: v_dual_cndmask_b32 v11, v16, v18
	s_delay_alu instid0(VALU_DEP_1) | instskip(NEXT) | instid1(VALU_DEP_2)
	v_xor_b32_e32 v16, v10, v19
	v_xor_b32_e32 v11, v11, v19
	s_delay_alu instid0(VALU_DEP_1) | instskip(NEXT) | instid1(VALU_DEP_3)
	v_sub_co_u32 v10, vcc_lo, v11, v19
	v_sub_co_ci_u32_e32 v11, vcc_lo, v16, v19, vcc_lo
.LBB26_23:
	s_and_not1_saveexec_b32 s2, s3
	s_cbranch_execz .LBB26_25
; %bb.24:
	v_cvt_f32_u32_e32 v10, s40
	s_sub_i32 s3, 0, s40
	s_delay_alu instid0(VALU_DEP_1) | instskip(SKIP_2) | instid1(VALU_DEP_1)
	v_rcp_iflag_f32_e32 v10, v10
	s_waitcnt_depctr 0xfff
	v_mul_f32_e32 v10, 0x4f7ffffe, v10
	v_cvt_u32_f32_e32 v10, v10
	s_delay_alu instid0(VALU_DEP_1) | instskip(NEXT) | instid1(VALU_DEP_1)
	v_mul_lo_u32 v11, s3, v10
	v_mul_hi_u32 v11, v10, v11
	s_delay_alu instid0(VALU_DEP_1) | instskip(NEXT) | instid1(VALU_DEP_1)
	v_add_nc_u32_e32 v10, v10, v11
	v_mul_hi_u32 v10, v14, v10
	s_delay_alu instid0(VALU_DEP_1) | instskip(SKIP_1) | instid1(VALU_DEP_2)
	v_mul_lo_u32 v11, v10, s40
	v_add_nc_u32_e32 v16, 1, v10
	v_sub_nc_u32_e32 v11, v14, v11
	s_delay_alu instid0(VALU_DEP_1) | instskip(SKIP_1) | instid1(VALU_DEP_2)
	v_subrev_nc_u32_e32 v17, s40, v11
	v_cmp_le_u32_e32 vcc_lo, s40, v11
	v_dual_cndmask_b32 v11, v11, v17 :: v_dual_cndmask_b32 v10, v10, v16
	s_delay_alu instid0(VALU_DEP_1) | instskip(NEXT) | instid1(VALU_DEP_2)
	v_cmp_le_u32_e32 vcc_lo, s40, v11
	v_dual_mov_b32 v11, 0 :: v_dual_add_nc_u32 v16, 1, v10
	s_delay_alu instid0(VALU_DEP_1)
	v_cndmask_b32_e32 v10, v10, v16, vcc_lo
.LBB26_25:
	s_or_b32 exec_lo, exec_lo, s2
	v_mul_lo_u32 v18, v7, s22
	v_mul_lo_u32 v19, v6, s23
	v_mad_u64_u32 v[16:17], null, v6, s22, 0
	v_mul_lo_u32 v7, v7, s30
	v_mul_lo_u32 v3, v3, s36
	s_load_b64 s[0:1], s[0:1], 0x80
	s_delay_alu instid0(VALU_DEP_3) | instskip(NEXT) | instid1(VALU_DEP_4)
	v_add3_u32 v17, v17, v19, v18
	v_sub_co_u32 v16, vcc_lo, v12, v16
	s_delay_alu instid0(VALU_DEP_2) | instskip(NEXT) | instid1(VALU_DEP_2)
	v_sub_co_ci_u32_e32 v17, vcc_lo, v13, v17, vcc_lo
	v_mul_lo_u32 v18, v16, s29
	v_mad_u64_u32 v[12:13], null, v16, s28, s[16:17]
	s_delay_alu instid0(VALU_DEP_3) | instskip(NEXT) | instid1(VALU_DEP_1)
	v_mul_lo_u32 v16, v17, s28
	v_add3_u32 v13, v16, v13, v18
	v_mul_lo_u32 v18, v6, s31
	s_delay_alu instid0(VALU_DEP_2) | instskip(SKIP_1) | instid1(VALU_DEP_2)
	v_mad_u64_u32 v[16:17], null, v6, s30, v[12:13]
	v_mul_lo_u32 v12, v2, s37
	v_add3_u32 v17, v7, v17, v18
	s_delay_alu instid0(VALU_DEP_1) | instskip(NEXT) | instid1(VALU_DEP_1)
	v_mad_u64_u32 v[6:7], null, v2, s36, v[16:17]
	v_add3_u32 v7, v3, v7, v12
	v_mul_lo_u32 v12, v0, s39
	s_delay_alu instid0(VALU_DEP_2) | instskip(SKIP_1) | instid1(VALU_DEP_1)
	v_mad_u64_u32 v[2:3], null, v0, s38, v[6:7]
	v_mul_lo_u32 v0, v1, s38
	v_add3_u32 v3, v0, v3, v12
	v_mad_u64_u32 v[0:1], null, v10, s40, 0
	global_load_u16 v6, v[2:3], off
	v_mul_lo_u32 v2, v11, s40
	v_mul_lo_u32 v3, v10, s41
	s_delay_alu instid0(VALU_DEP_1) | instskip(SKIP_1) | instid1(VALU_DEP_2)
	v_add3_u32 v1, v1, v3, v2
	v_sub_co_u32 v2, vcc_lo, v14, v0
	v_sub_co_ci_u32_e32 v0, vcc_lo, v15, v1, vcc_lo
	s_delay_alu instid0(VALU_DEP_2) | instskip(NEXT) | instid1(VALU_DEP_2)
	v_mul_lo_u32 v3, v2, s47
	v_mul_lo_u32 v7, v0, s46
	v_mad_u64_u32 v[0:1], null, v2, s46, s[18:19]
	s_delay_alu instid0(VALU_DEP_1) | instskip(NEXT) | instid1(VALU_DEP_1)
	v_add3_u32 v1, v7, v1, v3
	v_mad_u64_u32 v[2:3], null, v10, s48, v[0:1]
	v_mul_lo_u32 v0, v10, s49
	v_mul_lo_u32 v1, v11, s48
	s_delay_alu instid0(VALU_DEP_1) | instskip(NEXT) | instid1(VALU_DEP_1)
	v_add3_u32 v3, v1, v3, v0
	v_mad_u64_u32 v[0:1], null, v4, s50, v[2:3]
	v_mul_lo_u32 v2, v4, s51
	v_mul_lo_u32 v3, v5, s50
	s_delay_alu instid0(VALU_DEP_1) | instskip(SKIP_1) | instid1(VALU_DEP_1)
	v_add3_u32 v1, v3, v1, v2
	s_waitcnt lgkmcnt(0)
	v_mad_u64_u32 v[2:3], null, v8, s0, v[0:1]
	v_mul_lo_u32 v0, v8, s1
	v_mul_lo_u32 v1, v9, s0
	s_delay_alu instid0(VALU_DEP_1) | instskip(SKIP_2) | instid1(VALU_DEP_1)
	v_add3_u32 v3, v1, v3, v0
	s_waitcnt vmcnt(0)
	v_lshlrev_b32_e32 v4, 16, v6
	v_cvt_f16_f32_e32 v0, v4
	global_store_b16 v[2:3], v0, off
.LBB26_26:
	s_nop 0
	s_sendmsg sendmsg(MSG_DEALLOC_VGPRS)
	s_endpgm
	.section	.rodata,"a",@progbits
	.p2align	6, 0x0
	.amdhsa_kernel _ZL10cpy_scalarIXadL_ZL12cpy_1_scalarI14__hip_bfloat166__halfEvPKcPcEEEvS4_S5_lllllllllllllll
		.amdhsa_group_segment_fixed_size 0
		.amdhsa_private_segment_fixed_size 0
		.amdhsa_kernarg_size 392
		.amdhsa_user_sgpr_count 15
		.amdhsa_user_sgpr_dispatch_ptr 0
		.amdhsa_user_sgpr_queue_ptr 0
		.amdhsa_user_sgpr_kernarg_segment_ptr 1
		.amdhsa_user_sgpr_dispatch_id 0
		.amdhsa_user_sgpr_private_segment_size 0
		.amdhsa_wavefront_size32 1
		.amdhsa_uses_dynamic_stack 0
		.amdhsa_enable_private_segment 0
		.amdhsa_system_sgpr_workgroup_id_x 1
		.amdhsa_system_sgpr_workgroup_id_y 0
		.amdhsa_system_sgpr_workgroup_id_z 0
		.amdhsa_system_sgpr_workgroup_info 0
		.amdhsa_system_vgpr_workitem_id 0
		.amdhsa_next_free_vgpr 25
		.amdhsa_next_free_sgpr 52
		.amdhsa_reserve_vcc 1
		.amdhsa_float_round_mode_32 0
		.amdhsa_float_round_mode_16_64 0
		.amdhsa_float_denorm_mode_32 3
		.amdhsa_float_denorm_mode_16_64 3
		.amdhsa_dx10_clamp 1
		.amdhsa_ieee_mode 1
		.amdhsa_fp16_overflow 0
		.amdhsa_workgroup_processor_mode 1
		.amdhsa_memory_ordered 1
		.amdhsa_forward_progress 0
		.amdhsa_shared_vgpr_count 0
		.amdhsa_exception_fp_ieee_invalid_op 0
		.amdhsa_exception_fp_denorm_src 0
		.amdhsa_exception_fp_ieee_div_zero 0
		.amdhsa_exception_fp_ieee_overflow 0
		.amdhsa_exception_fp_ieee_underflow 0
		.amdhsa_exception_fp_ieee_inexact 0
		.amdhsa_exception_int_div_zero 0
	.end_amdhsa_kernel
	.section	.text._ZL10cpy_scalarIXadL_ZL12cpy_1_scalarI14__hip_bfloat166__halfEvPKcPcEEEvS4_S5_lllllllllllllll,"axG",@progbits,_ZL10cpy_scalarIXadL_ZL12cpy_1_scalarI14__hip_bfloat166__halfEvPKcPcEEEvS4_S5_lllllllllllllll,comdat
.Lfunc_end26:
	.size	_ZL10cpy_scalarIXadL_ZL12cpy_1_scalarI14__hip_bfloat166__halfEvPKcPcEEEvS4_S5_lllllllllllllll, .Lfunc_end26-_ZL10cpy_scalarIXadL_ZL12cpy_1_scalarI14__hip_bfloat166__halfEvPKcPcEEEvS4_S5_lllllllllllllll
                                        ; -- End function
	.section	.AMDGPU.csdata,"",@progbits
; Kernel info:
; codeLenInByte = 6836
; NumSgprs: 54
; NumVgprs: 25
; ScratchSize: 0
; MemoryBound: 0
; FloatMode: 240
; IeeeMode: 1
; LDSByteSize: 0 bytes/workgroup (compile time only)
; SGPRBlocks: 6
; VGPRBlocks: 3
; NumSGPRsForWavesPerEU: 54
; NumVGPRsForWavesPerEU: 25
; Occupancy: 16
; WaveLimiterHint : 0
; COMPUTE_PGM_RSRC2:SCRATCH_EN: 0
; COMPUTE_PGM_RSRC2:USER_SGPR: 15
; COMPUTE_PGM_RSRC2:TRAP_HANDLER: 0
; COMPUTE_PGM_RSRC2:TGID_X_EN: 1
; COMPUTE_PGM_RSRC2:TGID_Y_EN: 0
; COMPUTE_PGM_RSRC2:TGID_Z_EN: 0
; COMPUTE_PGM_RSRC2:TIDIG_COMP_CNT: 0
	.section	.text._ZL21cpy_scalar_contiguousI14__hip_bfloat16fEvPKcPcl,"axG",@progbits,_ZL21cpy_scalar_contiguousI14__hip_bfloat16fEvPKcPcl,comdat
	.globl	_ZL21cpy_scalar_contiguousI14__hip_bfloat16fEvPKcPcl ; -- Begin function _ZL21cpy_scalar_contiguousI14__hip_bfloat16fEvPKcPcl
	.p2align	8
	.type	_ZL21cpy_scalar_contiguousI14__hip_bfloat16fEvPKcPcl,@function
_ZL21cpy_scalar_contiguousI14__hip_bfloat16fEvPKcPcl: ; @_ZL21cpy_scalar_contiguousI14__hip_bfloat16fEvPKcPcl
; %bb.0:
	s_clause 0x1
	s_load_b32 s4, s[0:1], 0x24
	s_load_b64 s[2:3], s[0:1], 0x10
	v_mov_b32_e32 v1, 0
	s_waitcnt lgkmcnt(0)
	s_and_b32 s4, s4, 0xffff
	s_delay_alu instid0(VALU_DEP_1) | instid1(SALU_CYCLE_1)
	v_mad_u64_u32 v[2:3], null, s4, s15, v[0:1]
	s_delay_alu instid0(VALU_DEP_1)
	v_cmp_gt_i64_e32 vcc_lo, s[2:3], v[2:3]
	s_and_saveexec_b32 s2, vcc_lo
	s_cbranch_execz .LBB27_2
; %bb.1:
	s_load_b128 s[0:3], s[0:1], 0x0
	v_lshlrev_b64 v[0:1], 1, v[2:3]
	s_waitcnt lgkmcnt(0)
	s_delay_alu instid0(VALU_DEP_1) | instskip(NEXT) | instid1(VALU_DEP_2)
	v_add_co_u32 v0, vcc_lo, s0, v0
	v_add_co_ci_u32_e32 v1, vcc_lo, s1, v1, vcc_lo
	global_load_u16 v4, v[0:1], off
	v_lshlrev_b64 v[0:1], 2, v[2:3]
	s_delay_alu instid0(VALU_DEP_1) | instskip(NEXT) | instid1(VALU_DEP_2)
	v_add_co_u32 v0, vcc_lo, s2, v0
	v_add_co_ci_u32_e32 v1, vcc_lo, s3, v1, vcc_lo
	s_waitcnt vmcnt(0)
	v_lshlrev_b32_e32 v2, 16, v4
	global_store_b32 v[0:1], v2, off
.LBB27_2:
	s_nop 0
	s_sendmsg sendmsg(MSG_DEALLOC_VGPRS)
	s_endpgm
	.section	.rodata,"a",@progbits
	.p2align	6, 0x0
	.amdhsa_kernel _ZL21cpy_scalar_contiguousI14__hip_bfloat16fEvPKcPcl
		.amdhsa_group_segment_fixed_size 0
		.amdhsa_private_segment_fixed_size 0
		.amdhsa_kernarg_size 280
		.amdhsa_user_sgpr_count 15
		.amdhsa_user_sgpr_dispatch_ptr 0
		.amdhsa_user_sgpr_queue_ptr 0
		.amdhsa_user_sgpr_kernarg_segment_ptr 1
		.amdhsa_user_sgpr_dispatch_id 0
		.amdhsa_user_sgpr_private_segment_size 0
		.amdhsa_wavefront_size32 1
		.amdhsa_uses_dynamic_stack 0
		.amdhsa_enable_private_segment 0
		.amdhsa_system_sgpr_workgroup_id_x 1
		.amdhsa_system_sgpr_workgroup_id_y 0
		.amdhsa_system_sgpr_workgroup_id_z 0
		.amdhsa_system_sgpr_workgroup_info 0
		.amdhsa_system_vgpr_workitem_id 0
		.amdhsa_next_free_vgpr 5
		.amdhsa_next_free_sgpr 16
		.amdhsa_reserve_vcc 1
		.amdhsa_float_round_mode_32 0
		.amdhsa_float_round_mode_16_64 0
		.amdhsa_float_denorm_mode_32 3
		.amdhsa_float_denorm_mode_16_64 3
		.amdhsa_dx10_clamp 1
		.amdhsa_ieee_mode 1
		.amdhsa_fp16_overflow 0
		.amdhsa_workgroup_processor_mode 1
		.amdhsa_memory_ordered 1
		.amdhsa_forward_progress 0
		.amdhsa_shared_vgpr_count 0
		.amdhsa_exception_fp_ieee_invalid_op 0
		.amdhsa_exception_fp_denorm_src 0
		.amdhsa_exception_fp_ieee_div_zero 0
		.amdhsa_exception_fp_ieee_overflow 0
		.amdhsa_exception_fp_ieee_underflow 0
		.amdhsa_exception_fp_ieee_inexact 0
		.amdhsa_exception_int_div_zero 0
	.end_amdhsa_kernel
	.section	.text._ZL21cpy_scalar_contiguousI14__hip_bfloat16fEvPKcPcl,"axG",@progbits,_ZL21cpy_scalar_contiguousI14__hip_bfloat16fEvPKcPcl,comdat
.Lfunc_end27:
	.size	_ZL21cpy_scalar_contiguousI14__hip_bfloat16fEvPKcPcl, .Lfunc_end27-_ZL21cpy_scalar_contiguousI14__hip_bfloat16fEvPKcPcl
                                        ; -- End function
	.section	.AMDGPU.csdata,"",@progbits
; Kernel info:
; codeLenInByte = 160
; NumSgprs: 18
; NumVgprs: 5
; ScratchSize: 0
; MemoryBound: 0
; FloatMode: 240
; IeeeMode: 1
; LDSByteSize: 0 bytes/workgroup (compile time only)
; SGPRBlocks: 2
; VGPRBlocks: 0
; NumSGPRsForWavesPerEU: 18
; NumVGPRsForWavesPerEU: 5
; Occupancy: 16
; WaveLimiterHint : 0
; COMPUTE_PGM_RSRC2:SCRATCH_EN: 0
; COMPUTE_PGM_RSRC2:USER_SGPR: 15
; COMPUTE_PGM_RSRC2:TRAP_HANDLER: 0
; COMPUTE_PGM_RSRC2:TGID_X_EN: 1
; COMPUTE_PGM_RSRC2:TGID_Y_EN: 0
; COMPUTE_PGM_RSRC2:TGID_Z_EN: 0
; COMPUTE_PGM_RSRC2:TIDIG_COMP_CNT: 0
	.section	.text._ZL10cpy_scalarIXadL_ZL12cpy_1_scalarI14__hip_bfloat16fEvPKcPcEEEvS3_S4_lllllllllllllll,"axG",@progbits,_ZL10cpy_scalarIXadL_ZL12cpy_1_scalarI14__hip_bfloat16fEvPKcPcEEEvS3_S4_lllllllllllllll,comdat
	.globl	_ZL10cpy_scalarIXadL_ZL12cpy_1_scalarI14__hip_bfloat16fEvPKcPcEEEvS3_S4_lllllllllllllll ; -- Begin function _ZL10cpy_scalarIXadL_ZL12cpy_1_scalarI14__hip_bfloat16fEvPKcPcEEEvS3_S4_lllllllllllllll
	.p2align	8
	.type	_ZL10cpy_scalarIXadL_ZL12cpy_1_scalarI14__hip_bfloat16fEvPKcPcEEEvS3_S4_lllllllllllllll,@function
_ZL10cpy_scalarIXadL_ZL12cpy_1_scalarI14__hip_bfloat16fEvPKcPcEEEvS3_S4_lllllllllllllll: ; @_ZL10cpy_scalarIXadL_ZL12cpy_1_scalarI14__hip_bfloat16fEvPKcPcEEEvS3_S4_lllllllllllllll
; %bb.0:
	s_clause 0x1
	s_load_b32 s2, s[0:1], 0x94
	s_load_b512 s[16:31], s[0:1], 0x0
	v_mov_b32_e32 v2, 0
	s_delay_alu instid0(VALU_DEP_1)
	v_mov_b32_e32 v1, v2
	s_waitcnt lgkmcnt(0)
	s_and_b32 s2, s2, 0xffff
	s_delay_alu instid0(VALU_DEP_1) | instid1(SALU_CYCLE_1)
	v_mad_u64_u32 v[4:5], null, s2, s15, v[0:1]
	s_mov_b32 s2, exec_lo
	s_delay_alu instid0(VALU_DEP_1)
	v_cmpx_gt_i64_e64 s[20:21], v[4:5]
	s_cbranch_execz .LBB28_26
; %bb.1:
	s_mul_i32 s2, s24, s23
	s_mul_hi_u32 s3, s24, s22
	v_ashrrev_i32_e32 v10, 31, v5
	s_add_i32 s8, s3, s2
	s_mul_i32 s3, s24, s22
	s_mul_i32 s2, s25, s22
	;; [unrolled: 1-line block ×3, first 2 shown]
	s_mul_hi_u32 s5, s3, s26
	s_add_i32 s8, s8, s2
	s_add_i32 s2, s5, s4
	s_mul_i32 s4, s8, s26
	s_mul_i32 s10, s3, s26
	s_add_i32 s9, s2, s4
                                        ; implicit-def: $vgpr0_vgpr1
	s_mov_b32 s2, exec_lo
	v_or_b32_e32 v3, s9, v5
	s_delay_alu instid0(VALU_DEP_1)
	v_cmpx_ne_u64_e32 0, v[2:3]
	s_xor_b32 s11, exec_lo, s2
	s_cbranch_execz .LBB28_3
; %bb.2:
	s_ashr_i32 s4, s9, 31
	s_delay_alu instid0(SALU_CYCLE_1) | instskip(SKIP_2) | instid1(SALU_CYCLE_1)
	s_add_u32 s6, s10, s4
	s_mov_b32 s5, s4
	s_addc_u32 s7, s9, s4
	s_xor_b64 s[6:7], s[6:7], s[4:5]
	s_delay_alu instid0(SALU_CYCLE_1) | instskip(SKIP_3) | instid1(VALU_DEP_1)
	v_cvt_f32_u32_e32 v0, s6
	v_cvt_f32_u32_e32 v1, s7
	s_sub_u32 s2, 0, s6
	s_subb_u32 s5, 0, s7
	v_fmamk_f32 v0, v1, 0x4f800000, v0
	s_delay_alu instid0(VALU_DEP_1) | instskip(SKIP_2) | instid1(VALU_DEP_1)
	v_rcp_f32_e32 v0, v0
	s_waitcnt_depctr 0xfff
	v_mul_f32_e32 v0, 0x5f7ffffc, v0
	v_mul_f32_e32 v1, 0x2f800000, v0
	s_delay_alu instid0(VALU_DEP_1) | instskip(NEXT) | instid1(VALU_DEP_1)
	v_trunc_f32_e32 v1, v1
	v_fmamk_f32 v0, v1, 0xcf800000, v0
	v_cvt_u32_f32_e32 v1, v1
	s_delay_alu instid0(VALU_DEP_2) | instskip(NEXT) | instid1(VALU_DEP_2)
	v_cvt_u32_f32_e32 v0, v0
	v_mul_lo_u32 v2, s2, v1
	s_delay_alu instid0(VALU_DEP_2) | instskip(SKIP_1) | instid1(VALU_DEP_2)
	v_mul_hi_u32 v3, s2, v0
	v_mul_lo_u32 v6, s5, v0
	v_add_nc_u32_e32 v2, v3, v2
	v_mul_lo_u32 v3, s2, v0
	s_delay_alu instid0(VALU_DEP_2) | instskip(NEXT) | instid1(VALU_DEP_2)
	v_add_nc_u32_e32 v2, v2, v6
	v_mul_hi_u32 v6, v0, v3
	s_delay_alu instid0(VALU_DEP_2)
	v_mul_lo_u32 v7, v0, v2
	v_mul_hi_u32 v8, v0, v2
	v_mul_hi_u32 v9, v1, v3
	v_mul_lo_u32 v3, v1, v3
	v_mul_hi_u32 v11, v1, v2
	v_mul_lo_u32 v2, v1, v2
	v_add_co_u32 v6, vcc_lo, v6, v7
	v_add_co_ci_u32_e32 v7, vcc_lo, 0, v8, vcc_lo
	s_delay_alu instid0(VALU_DEP_2) | instskip(NEXT) | instid1(VALU_DEP_2)
	v_add_co_u32 v3, vcc_lo, v6, v3
	v_add_co_ci_u32_e32 v3, vcc_lo, v7, v9, vcc_lo
	v_add_co_ci_u32_e32 v6, vcc_lo, 0, v11, vcc_lo
	s_delay_alu instid0(VALU_DEP_2) | instskip(NEXT) | instid1(VALU_DEP_2)
	v_add_co_u32 v2, vcc_lo, v3, v2
	v_add_co_ci_u32_e32 v3, vcc_lo, 0, v6, vcc_lo
	s_delay_alu instid0(VALU_DEP_2) | instskip(NEXT) | instid1(VALU_DEP_2)
	v_add_co_u32 v0, vcc_lo, v0, v2
	v_add_co_ci_u32_e32 v1, vcc_lo, v1, v3, vcc_lo
	s_delay_alu instid0(VALU_DEP_2) | instskip(SKIP_1) | instid1(VALU_DEP_3)
	v_mul_hi_u32 v2, s2, v0
	v_mul_lo_u32 v6, s5, v0
	v_mul_lo_u32 v3, s2, v1
	s_delay_alu instid0(VALU_DEP_1) | instskip(SKIP_1) | instid1(VALU_DEP_2)
	v_add_nc_u32_e32 v2, v2, v3
	v_mul_lo_u32 v3, s2, v0
	v_add_nc_u32_e32 v2, v2, v6
	s_delay_alu instid0(VALU_DEP_2) | instskip(NEXT) | instid1(VALU_DEP_2)
	v_mul_hi_u32 v6, v0, v3
	v_mul_lo_u32 v7, v0, v2
	v_mul_hi_u32 v8, v0, v2
	v_mul_hi_u32 v9, v1, v3
	v_mul_lo_u32 v3, v1, v3
	v_mul_hi_u32 v11, v1, v2
	v_mul_lo_u32 v2, v1, v2
	v_add_co_u32 v6, vcc_lo, v6, v7
	v_add_co_ci_u32_e32 v7, vcc_lo, 0, v8, vcc_lo
	s_delay_alu instid0(VALU_DEP_2) | instskip(NEXT) | instid1(VALU_DEP_2)
	v_add_co_u32 v3, vcc_lo, v6, v3
	v_add_co_ci_u32_e32 v3, vcc_lo, v7, v9, vcc_lo
	v_add_co_ci_u32_e32 v6, vcc_lo, 0, v11, vcc_lo
	v_add_co_u32 v7, vcc_lo, v4, v10
	v_add_co_ci_u32_e32 v8, vcc_lo, v5, v10, vcc_lo
	s_delay_alu instid0(VALU_DEP_4) | instskip(NEXT) | instid1(VALU_DEP_4)
	v_add_co_u32 v2, vcc_lo, v3, v2
	v_add_co_ci_u32_e32 v3, vcc_lo, 0, v6, vcc_lo
	s_delay_alu instid0(VALU_DEP_4) | instskip(NEXT) | instid1(VALU_DEP_3)
	v_xor_b32_e32 v9, v7, v10
	v_add_co_u32 v6, vcc_lo, v0, v2
	s_delay_alu instid0(VALU_DEP_3) | instskip(SKIP_1) | instid1(VALU_DEP_3)
	v_add_co_ci_u32_e32 v11, vcc_lo, v1, v3, vcc_lo
	v_xor_b32_e32 v8, v8, v10
	v_mul_hi_u32 v12, v9, v6
	s_delay_alu instid0(VALU_DEP_3) | instskip(NEXT) | instid1(VALU_DEP_3)
	v_mad_u64_u32 v[0:1], null, v9, v11, 0
	v_mad_u64_u32 v[2:3], null, v8, v6, 0
	;; [unrolled: 1-line block ×3, first 2 shown]
	s_delay_alu instid0(VALU_DEP_3) | instskip(NEXT) | instid1(VALU_DEP_4)
	v_add_co_u32 v0, vcc_lo, v12, v0
	v_add_co_ci_u32_e32 v1, vcc_lo, 0, v1, vcc_lo
	s_delay_alu instid0(VALU_DEP_2) | instskip(NEXT) | instid1(VALU_DEP_2)
	v_add_co_u32 v0, vcc_lo, v0, v2
	v_add_co_ci_u32_e32 v0, vcc_lo, v1, v3, vcc_lo
	v_add_co_ci_u32_e32 v1, vcc_lo, 0, v7, vcc_lo
	s_delay_alu instid0(VALU_DEP_2) | instskip(NEXT) | instid1(VALU_DEP_2)
	v_add_co_u32 v2, vcc_lo, v0, v6
	v_add_co_ci_u32_e32 v3, vcc_lo, 0, v1, vcc_lo
	s_delay_alu instid0(VALU_DEP_2) | instskip(SKIP_1) | instid1(VALU_DEP_3)
	v_mul_lo_u32 v6, s7, v2
	v_mad_u64_u32 v[0:1], null, s6, v2, 0
	v_mul_lo_u32 v7, s6, v3
	s_delay_alu instid0(VALU_DEP_2) | instskip(NEXT) | instid1(VALU_DEP_2)
	v_sub_co_u32 v0, vcc_lo, v9, v0
	v_add3_u32 v1, v1, v7, v6
	s_delay_alu instid0(VALU_DEP_1) | instskip(NEXT) | instid1(VALU_DEP_1)
	v_sub_nc_u32_e32 v6, v8, v1
	v_subrev_co_ci_u32_e64 v6, s2, s7, v6, vcc_lo
	v_add_co_u32 v7, s2, v2, 2
	s_delay_alu instid0(VALU_DEP_1) | instskip(SKIP_3) | instid1(VALU_DEP_3)
	v_add_co_ci_u32_e64 v9, s2, 0, v3, s2
	v_sub_co_u32 v11, s2, v0, s6
	v_sub_co_ci_u32_e32 v1, vcc_lo, v8, v1, vcc_lo
	v_subrev_co_ci_u32_e64 v6, s2, 0, v6, s2
	v_cmp_le_u32_e32 vcc_lo, s6, v11
	s_delay_alu instid0(VALU_DEP_3) | instskip(SKIP_1) | instid1(VALU_DEP_4)
	v_cmp_eq_u32_e64 s2, s7, v1
	v_cndmask_b32_e64 v8, 0, -1, vcc_lo
	v_cmp_le_u32_e32 vcc_lo, s7, v6
	v_cndmask_b32_e64 v11, 0, -1, vcc_lo
	v_cmp_le_u32_e32 vcc_lo, s6, v0
	;; [unrolled: 2-line block ×3, first 2 shown]
	v_cndmask_b32_e64 v12, 0, -1, vcc_lo
	v_cmp_eq_u32_e32 vcc_lo, s7, v6
	s_delay_alu instid0(VALU_DEP_2) | instskip(SKIP_3) | instid1(VALU_DEP_3)
	v_cndmask_b32_e64 v0, v12, v0, s2
	v_cndmask_b32_e32 v6, v11, v8, vcc_lo
	v_add_co_u32 v8, vcc_lo, v2, 1
	v_add_co_ci_u32_e32 v11, vcc_lo, 0, v3, vcc_lo
	v_cmp_ne_u32_e32 vcc_lo, 0, v6
	s_delay_alu instid0(VALU_DEP_2) | instskip(SKIP_2) | instid1(VALU_DEP_3)
	v_dual_cndmask_b32 v1, v11, v9 :: v_dual_cndmask_b32 v6, v8, v7
	v_cmp_ne_u32_e32 vcc_lo, 0, v0
	v_xor_b32_e32 v7, s4, v10
	v_dual_cndmask_b32 v0, v3, v1 :: v_dual_cndmask_b32 v1, v2, v6
	s_delay_alu instid0(VALU_DEP_1) | instskip(NEXT) | instid1(VALU_DEP_2)
	v_xor_b32_e32 v2, v0, v7
	v_xor_b32_e32 v1, v1, v7
	s_delay_alu instid0(VALU_DEP_1) | instskip(NEXT) | instid1(VALU_DEP_3)
	v_sub_co_u32 v0, vcc_lo, v1, v7
	v_sub_co_ci_u32_e32 v1, vcc_lo, v2, v7, vcc_lo
.LBB28_3:
	s_and_not1_saveexec_b32 s2, s11
	s_cbranch_execz .LBB28_5
; %bb.4:
	v_cvt_f32_u32_e32 v0, s10
	s_sub_i32 s4, 0, s10
	s_delay_alu instid0(VALU_DEP_1) | instskip(SKIP_2) | instid1(VALU_DEP_1)
	v_rcp_iflag_f32_e32 v0, v0
	s_waitcnt_depctr 0xfff
	v_mul_f32_e32 v0, 0x4f7ffffe, v0
	v_cvt_u32_f32_e32 v0, v0
	s_delay_alu instid0(VALU_DEP_1) | instskip(NEXT) | instid1(VALU_DEP_1)
	v_mul_lo_u32 v1, s4, v0
	v_mul_hi_u32 v1, v0, v1
	s_delay_alu instid0(VALU_DEP_1) | instskip(NEXT) | instid1(VALU_DEP_1)
	v_add_nc_u32_e32 v0, v0, v1
	v_mul_hi_u32 v0, v4, v0
	s_delay_alu instid0(VALU_DEP_1) | instskip(SKIP_1) | instid1(VALU_DEP_2)
	v_mul_lo_u32 v1, v0, s10
	v_add_nc_u32_e32 v2, 1, v0
	v_sub_nc_u32_e32 v1, v4, v1
	s_delay_alu instid0(VALU_DEP_1) | instskip(SKIP_1) | instid1(VALU_DEP_2)
	v_subrev_nc_u32_e32 v3, s10, v1
	v_cmp_le_u32_e32 vcc_lo, s10, v1
	v_dual_cndmask_b32 v1, v1, v3 :: v_dual_cndmask_b32 v0, v0, v2
	s_delay_alu instid0(VALU_DEP_1) | instskip(NEXT) | instid1(VALU_DEP_2)
	v_cmp_le_u32_e32 vcc_lo, s10, v1
	v_dual_mov_b32 v1, 0 :: v_dual_add_nc_u32 v2, 1, v0
	s_delay_alu instid0(VALU_DEP_1)
	v_cndmask_b32_e32 v0, v0, v2, vcc_lo
.LBB28_5:
	s_or_b32 exec_lo, exec_lo, s2
	s_delay_alu instid0(VALU_DEP_1) | instskip(NEXT) | instid1(VALU_DEP_2)
	v_mul_lo_u32 v6, s9, v0
	v_mul_lo_u32 v7, s10, v1
	v_mad_u64_u32 v[2:3], null, s10, v0, 0
	s_delay_alu instid0(VALU_DEP_1) | instskip(NEXT) | instid1(VALU_DEP_2)
	v_add3_u32 v3, v3, v7, v6
	v_sub_co_u32 v6, vcc_lo, v4, v2
	v_mov_b32_e32 v2, 0
	s_delay_alu instid0(VALU_DEP_3) | instskip(NEXT) | instid1(VALU_DEP_1)
	v_sub_co_ci_u32_e32 v7, vcc_lo, v5, v3, vcc_lo
	v_or_b32_e32 v3, s8, v7
	s_delay_alu instid0(VALU_DEP_1) | instskip(SKIP_1) | instid1(SALU_CYCLE_1)
	v_cmp_ne_u64_e32 vcc_lo, 0, v[2:3]
                                        ; implicit-def: $vgpr2_vgpr3
	s_and_saveexec_b32 s2, vcc_lo
	s_xor_b32 s9, exec_lo, s2
	s_cbranch_execz .LBB28_7
; %bb.6:
	s_ashr_i32 s4, s8, 31
	s_delay_alu instid0(SALU_CYCLE_1) | instskip(SKIP_2) | instid1(SALU_CYCLE_1)
	s_add_u32 s6, s3, s4
	s_mov_b32 s5, s4
	s_addc_u32 s7, s8, s4
	s_xor_b64 s[6:7], s[6:7], s[4:5]
	s_delay_alu instid0(SALU_CYCLE_1) | instskip(SKIP_3) | instid1(VALU_DEP_1)
	v_cvt_f32_u32_e32 v2, s6
	v_cvt_f32_u32_e32 v3, s7
	s_sub_u32 s2, 0, s6
	s_subb_u32 s5, 0, s7
	v_fmamk_f32 v2, v3, 0x4f800000, v2
	s_delay_alu instid0(VALU_DEP_1) | instskip(SKIP_2) | instid1(VALU_DEP_1)
	v_rcp_f32_e32 v2, v2
	s_waitcnt_depctr 0xfff
	v_mul_f32_e32 v2, 0x5f7ffffc, v2
	v_mul_f32_e32 v3, 0x2f800000, v2
	s_delay_alu instid0(VALU_DEP_1) | instskip(NEXT) | instid1(VALU_DEP_1)
	v_trunc_f32_e32 v3, v3
	v_fmamk_f32 v2, v3, 0xcf800000, v2
	v_cvt_u32_f32_e32 v3, v3
	s_delay_alu instid0(VALU_DEP_2) | instskip(NEXT) | instid1(VALU_DEP_2)
	v_cvt_u32_f32_e32 v2, v2
	v_mul_lo_u32 v8, s2, v3
	s_delay_alu instid0(VALU_DEP_2) | instskip(SKIP_1) | instid1(VALU_DEP_2)
	v_mul_hi_u32 v9, s2, v2
	v_mul_lo_u32 v11, s5, v2
	v_add_nc_u32_e32 v8, v9, v8
	v_mul_lo_u32 v9, s2, v2
	s_delay_alu instid0(VALU_DEP_2) | instskip(NEXT) | instid1(VALU_DEP_2)
	v_add_nc_u32_e32 v8, v8, v11
	v_mul_hi_u32 v11, v2, v9
	s_delay_alu instid0(VALU_DEP_2)
	v_mul_lo_u32 v12, v2, v8
	v_mul_hi_u32 v13, v2, v8
	v_mul_hi_u32 v14, v3, v9
	v_mul_lo_u32 v9, v3, v9
	v_mul_hi_u32 v15, v3, v8
	v_mul_lo_u32 v8, v3, v8
	v_add_co_u32 v11, vcc_lo, v11, v12
	v_add_co_ci_u32_e32 v12, vcc_lo, 0, v13, vcc_lo
	s_delay_alu instid0(VALU_DEP_2) | instskip(NEXT) | instid1(VALU_DEP_2)
	v_add_co_u32 v9, vcc_lo, v11, v9
	v_add_co_ci_u32_e32 v9, vcc_lo, v12, v14, vcc_lo
	v_add_co_ci_u32_e32 v11, vcc_lo, 0, v15, vcc_lo
	v_ashrrev_i32_e32 v14, 31, v7
	s_delay_alu instid0(VALU_DEP_3) | instskip(NEXT) | instid1(VALU_DEP_3)
	v_add_co_u32 v8, vcc_lo, v9, v8
	v_add_co_ci_u32_e32 v9, vcc_lo, 0, v11, vcc_lo
	s_delay_alu instid0(VALU_DEP_2) | instskip(NEXT) | instid1(VALU_DEP_2)
	v_add_co_u32 v2, vcc_lo, v2, v8
	v_add_co_ci_u32_e32 v3, vcc_lo, v3, v9, vcc_lo
	s_delay_alu instid0(VALU_DEP_2) | instskip(SKIP_1) | instid1(VALU_DEP_3)
	v_mul_hi_u32 v8, s2, v2
	v_mul_lo_u32 v11, s5, v2
	v_mul_lo_u32 v9, s2, v3
	s_delay_alu instid0(VALU_DEP_1) | instskip(SKIP_1) | instid1(VALU_DEP_2)
	v_add_nc_u32_e32 v8, v8, v9
	v_mul_lo_u32 v9, s2, v2
	v_add_nc_u32_e32 v8, v8, v11
	s_delay_alu instid0(VALU_DEP_2) | instskip(NEXT) | instid1(VALU_DEP_2)
	v_mul_hi_u32 v11, v2, v9
	v_mul_lo_u32 v12, v2, v8
	v_mul_hi_u32 v13, v2, v8
	v_mul_hi_u32 v15, v3, v9
	v_mul_lo_u32 v9, v3, v9
	v_mul_hi_u32 v16, v3, v8
	v_mul_lo_u32 v8, v3, v8
	v_add_co_u32 v11, vcc_lo, v11, v12
	v_add_co_ci_u32_e32 v12, vcc_lo, 0, v13, vcc_lo
	s_delay_alu instid0(VALU_DEP_2) | instskip(NEXT) | instid1(VALU_DEP_2)
	v_add_co_u32 v9, vcc_lo, v11, v9
	v_add_co_ci_u32_e32 v9, vcc_lo, v12, v15, vcc_lo
	v_add_co_ci_u32_e32 v11, vcc_lo, 0, v16, vcc_lo
	v_add_co_u32 v12, vcc_lo, v6, v14
	v_add_co_ci_u32_e32 v13, vcc_lo, v7, v14, vcc_lo
	s_delay_alu instid0(VALU_DEP_4) | instskip(NEXT) | instid1(VALU_DEP_4)
	v_add_co_u32 v8, vcc_lo, v9, v8
	v_add_co_ci_u32_e32 v9, vcc_lo, 0, v11, vcc_lo
	s_delay_alu instid0(VALU_DEP_4) | instskip(NEXT) | instid1(VALU_DEP_3)
	v_xor_b32_e32 v15, v12, v14
	v_add_co_u32 v11, vcc_lo, v2, v8
	s_delay_alu instid0(VALU_DEP_3) | instskip(SKIP_1) | instid1(VALU_DEP_3)
	v_add_co_ci_u32_e32 v16, vcc_lo, v3, v9, vcc_lo
	v_xor_b32_e32 v13, v13, v14
	v_mul_hi_u32 v17, v15, v11
	s_delay_alu instid0(VALU_DEP_3) | instskip(NEXT) | instid1(VALU_DEP_3)
	v_mad_u64_u32 v[2:3], null, v15, v16, 0
	v_mad_u64_u32 v[8:9], null, v13, v11, 0
	;; [unrolled: 1-line block ×3, first 2 shown]
	s_delay_alu instid0(VALU_DEP_3) | instskip(NEXT) | instid1(VALU_DEP_4)
	v_add_co_u32 v2, vcc_lo, v17, v2
	v_add_co_ci_u32_e32 v3, vcc_lo, 0, v3, vcc_lo
	s_delay_alu instid0(VALU_DEP_2) | instskip(NEXT) | instid1(VALU_DEP_2)
	v_add_co_u32 v2, vcc_lo, v2, v8
	v_add_co_ci_u32_e32 v2, vcc_lo, v3, v9, vcc_lo
	v_add_co_ci_u32_e32 v3, vcc_lo, 0, v12, vcc_lo
	s_delay_alu instid0(VALU_DEP_2) | instskip(NEXT) | instid1(VALU_DEP_2)
	v_add_co_u32 v8, vcc_lo, v2, v11
	v_add_co_ci_u32_e32 v9, vcc_lo, 0, v3, vcc_lo
	s_delay_alu instid0(VALU_DEP_2) | instskip(SKIP_1) | instid1(VALU_DEP_3)
	v_mul_lo_u32 v11, s7, v8
	v_mad_u64_u32 v[2:3], null, s6, v8, 0
	v_mul_lo_u32 v12, s6, v9
	s_delay_alu instid0(VALU_DEP_2) | instskip(NEXT) | instid1(VALU_DEP_2)
	v_sub_co_u32 v2, vcc_lo, v15, v2
	v_add3_u32 v3, v3, v12, v11
	s_delay_alu instid0(VALU_DEP_1) | instskip(NEXT) | instid1(VALU_DEP_1)
	v_sub_nc_u32_e32 v11, v13, v3
	v_subrev_co_ci_u32_e64 v11, s2, s7, v11, vcc_lo
	v_add_co_u32 v12, s2, v8, 2
	s_delay_alu instid0(VALU_DEP_1) | instskip(SKIP_3) | instid1(VALU_DEP_3)
	v_add_co_ci_u32_e64 v15, s2, 0, v9, s2
	v_sub_co_u32 v16, s2, v2, s6
	v_sub_co_ci_u32_e32 v3, vcc_lo, v13, v3, vcc_lo
	v_subrev_co_ci_u32_e64 v11, s2, 0, v11, s2
	v_cmp_le_u32_e32 vcc_lo, s6, v16
	s_delay_alu instid0(VALU_DEP_3) | instskip(SKIP_1) | instid1(VALU_DEP_4)
	v_cmp_eq_u32_e64 s2, s7, v3
	v_cndmask_b32_e64 v13, 0, -1, vcc_lo
	v_cmp_le_u32_e32 vcc_lo, s7, v11
	v_cndmask_b32_e64 v16, 0, -1, vcc_lo
	v_cmp_le_u32_e32 vcc_lo, s6, v2
	;; [unrolled: 2-line block ×3, first 2 shown]
	v_cndmask_b32_e64 v17, 0, -1, vcc_lo
	v_cmp_eq_u32_e32 vcc_lo, s7, v11
	s_delay_alu instid0(VALU_DEP_2) | instskip(SKIP_3) | instid1(VALU_DEP_3)
	v_cndmask_b32_e64 v2, v17, v2, s2
	v_cndmask_b32_e32 v11, v16, v13, vcc_lo
	v_add_co_u32 v13, vcc_lo, v8, 1
	v_add_co_ci_u32_e32 v16, vcc_lo, 0, v9, vcc_lo
	v_cmp_ne_u32_e32 vcc_lo, 0, v11
	s_delay_alu instid0(VALU_DEP_3) | instskip(NEXT) | instid1(VALU_DEP_3)
	v_cndmask_b32_e32 v11, v13, v12, vcc_lo
	v_cndmask_b32_e32 v3, v16, v15, vcc_lo
	v_cmp_ne_u32_e32 vcc_lo, 0, v2
	v_xor_b32_e32 v12, s4, v14
	s_delay_alu instid0(VALU_DEP_3) | instskip(SKIP_1) | instid1(VALU_DEP_2)
	v_cndmask_b32_e32 v2, v9, v3, vcc_lo
	v_cndmask_b32_e32 v3, v8, v11, vcc_lo
	v_xor_b32_e32 v8, v2, v12
	s_delay_alu instid0(VALU_DEP_2) | instskip(NEXT) | instid1(VALU_DEP_1)
	v_xor_b32_e32 v3, v3, v12
	v_sub_co_u32 v2, vcc_lo, v3, v12
	s_delay_alu instid0(VALU_DEP_3)
	v_sub_co_ci_u32_e32 v3, vcc_lo, v8, v12, vcc_lo
.LBB28_7:
	s_and_not1_saveexec_b32 s2, s9
	s_cbranch_execz .LBB28_9
; %bb.8:
	v_cvt_f32_u32_e32 v2, s3
	s_sub_i32 s4, 0, s3
	s_delay_alu instid0(VALU_DEP_1) | instskip(SKIP_2) | instid1(VALU_DEP_1)
	v_rcp_iflag_f32_e32 v2, v2
	s_waitcnt_depctr 0xfff
	v_mul_f32_e32 v2, 0x4f7ffffe, v2
	v_cvt_u32_f32_e32 v2, v2
	s_delay_alu instid0(VALU_DEP_1) | instskip(NEXT) | instid1(VALU_DEP_1)
	v_mul_lo_u32 v3, s4, v2
	v_mul_hi_u32 v3, v2, v3
	s_delay_alu instid0(VALU_DEP_1) | instskip(NEXT) | instid1(VALU_DEP_1)
	v_add_nc_u32_e32 v2, v2, v3
	v_mul_hi_u32 v2, v6, v2
	s_delay_alu instid0(VALU_DEP_1) | instskip(SKIP_1) | instid1(VALU_DEP_2)
	v_mul_lo_u32 v3, v2, s3
	v_add_nc_u32_e32 v8, 1, v2
	v_sub_nc_u32_e32 v3, v6, v3
	s_delay_alu instid0(VALU_DEP_1) | instskip(SKIP_1) | instid1(VALU_DEP_2)
	v_subrev_nc_u32_e32 v9, s3, v3
	v_cmp_le_u32_e32 vcc_lo, s3, v3
	v_dual_cndmask_b32 v3, v3, v9 :: v_dual_cndmask_b32 v2, v2, v8
	s_delay_alu instid0(VALU_DEP_1) | instskip(NEXT) | instid1(VALU_DEP_2)
	v_cmp_le_u32_e32 vcc_lo, s3, v3
	v_dual_mov_b32 v3, 0 :: v_dual_add_nc_u32 v8, 1, v2
	s_delay_alu instid0(VALU_DEP_1)
	v_cndmask_b32_e32 v2, v2, v8, vcc_lo
.LBB28_9:
	s_or_b32 exec_lo, exec_lo, s2
	s_delay_alu instid0(VALU_DEP_1) | instskip(NEXT) | instid1(VALU_DEP_2)
	v_mul_lo_u32 v11, s8, v2
	v_mul_lo_u32 v12, s3, v3
	v_mad_u64_u32 v[8:9], null, s3, v2, 0
	s_delay_alu instid0(VALU_DEP_1) | instskip(NEXT) | instid1(VALU_DEP_2)
	v_add3_u32 v9, v9, v12, v11
	v_sub_co_u32 v12, vcc_lo, v6, v8
	v_mov_b32_e32 v6, 0
	s_delay_alu instid0(VALU_DEP_3) | instskip(NEXT) | instid1(VALU_DEP_1)
	v_sub_co_ci_u32_e32 v13, vcc_lo, v7, v9, vcc_lo
	v_or_b32_e32 v7, s23, v13
	s_delay_alu instid0(VALU_DEP_1) | instskip(SKIP_1) | instid1(SALU_CYCLE_1)
	v_cmp_ne_u64_e32 vcc_lo, 0, v[6:7]
                                        ; implicit-def: $vgpr6_vgpr7
	s_and_saveexec_b32 s2, vcc_lo
	s_xor_b32 s3, exec_lo, s2
	s_cbranch_execz .LBB28_11
; %bb.10:
	s_ashr_i32 s4, s23, 31
	s_delay_alu instid0(SALU_CYCLE_1) | instskip(SKIP_2) | instid1(SALU_CYCLE_1)
	s_add_u32 s6, s22, s4
	s_mov_b32 s5, s4
	s_addc_u32 s7, s23, s4
	s_xor_b64 s[6:7], s[6:7], s[4:5]
	s_delay_alu instid0(SALU_CYCLE_1) | instskip(SKIP_3) | instid1(VALU_DEP_1)
	v_cvt_f32_u32_e32 v6, s6
	v_cvt_f32_u32_e32 v7, s7
	s_sub_u32 s2, 0, s6
	s_subb_u32 s5, 0, s7
	v_fmamk_f32 v6, v7, 0x4f800000, v6
	s_delay_alu instid0(VALU_DEP_1) | instskip(SKIP_2) | instid1(VALU_DEP_1)
	v_rcp_f32_e32 v6, v6
	s_waitcnt_depctr 0xfff
	v_mul_f32_e32 v6, 0x5f7ffffc, v6
	v_mul_f32_e32 v7, 0x2f800000, v6
	s_delay_alu instid0(VALU_DEP_1) | instskip(NEXT) | instid1(VALU_DEP_1)
	v_trunc_f32_e32 v7, v7
	v_fmamk_f32 v6, v7, 0xcf800000, v6
	v_cvt_u32_f32_e32 v7, v7
	s_delay_alu instid0(VALU_DEP_2) | instskip(NEXT) | instid1(VALU_DEP_2)
	v_cvt_u32_f32_e32 v6, v6
	v_mul_lo_u32 v8, s2, v7
	s_delay_alu instid0(VALU_DEP_2) | instskip(SKIP_1) | instid1(VALU_DEP_2)
	v_mul_hi_u32 v9, s2, v6
	v_mul_lo_u32 v11, s5, v6
	v_add_nc_u32_e32 v8, v9, v8
	v_mul_lo_u32 v9, s2, v6
	s_delay_alu instid0(VALU_DEP_2) | instskip(NEXT) | instid1(VALU_DEP_2)
	v_add_nc_u32_e32 v8, v8, v11
	v_mul_hi_u32 v11, v6, v9
	s_delay_alu instid0(VALU_DEP_2)
	v_mul_lo_u32 v14, v6, v8
	v_mul_hi_u32 v15, v6, v8
	v_mul_hi_u32 v16, v7, v9
	v_mul_lo_u32 v9, v7, v9
	v_mul_hi_u32 v17, v7, v8
	v_mul_lo_u32 v8, v7, v8
	v_add_co_u32 v11, vcc_lo, v11, v14
	v_add_co_ci_u32_e32 v14, vcc_lo, 0, v15, vcc_lo
	s_delay_alu instid0(VALU_DEP_2) | instskip(NEXT) | instid1(VALU_DEP_2)
	v_add_co_u32 v9, vcc_lo, v11, v9
	v_add_co_ci_u32_e32 v9, vcc_lo, v14, v16, vcc_lo
	v_add_co_ci_u32_e32 v11, vcc_lo, 0, v17, vcc_lo
	v_ashrrev_i32_e32 v16, 31, v13
	s_delay_alu instid0(VALU_DEP_3) | instskip(NEXT) | instid1(VALU_DEP_3)
	v_add_co_u32 v8, vcc_lo, v9, v8
	v_add_co_ci_u32_e32 v9, vcc_lo, 0, v11, vcc_lo
	s_delay_alu instid0(VALU_DEP_2) | instskip(NEXT) | instid1(VALU_DEP_2)
	v_add_co_u32 v6, vcc_lo, v6, v8
	v_add_co_ci_u32_e32 v7, vcc_lo, v7, v9, vcc_lo
	s_delay_alu instid0(VALU_DEP_2) | instskip(SKIP_1) | instid1(VALU_DEP_3)
	v_mul_hi_u32 v8, s2, v6
	v_mul_lo_u32 v11, s5, v6
	v_mul_lo_u32 v9, s2, v7
	s_delay_alu instid0(VALU_DEP_1) | instskip(SKIP_1) | instid1(VALU_DEP_2)
	v_add_nc_u32_e32 v8, v8, v9
	v_mul_lo_u32 v9, s2, v6
	v_add_nc_u32_e32 v8, v8, v11
	s_delay_alu instid0(VALU_DEP_2) | instskip(NEXT) | instid1(VALU_DEP_2)
	v_mul_hi_u32 v11, v6, v9
	v_mul_lo_u32 v14, v6, v8
	v_mul_hi_u32 v15, v6, v8
	v_mul_hi_u32 v17, v7, v9
	v_mul_lo_u32 v9, v7, v9
	v_mul_hi_u32 v18, v7, v8
	v_mul_lo_u32 v8, v7, v8
	v_add_co_u32 v11, vcc_lo, v11, v14
	v_add_co_ci_u32_e32 v14, vcc_lo, 0, v15, vcc_lo
	s_delay_alu instid0(VALU_DEP_2) | instskip(NEXT) | instid1(VALU_DEP_2)
	v_add_co_u32 v9, vcc_lo, v11, v9
	v_add_co_ci_u32_e32 v9, vcc_lo, v14, v17, vcc_lo
	v_add_co_ci_u32_e32 v11, vcc_lo, 0, v18, vcc_lo
	v_add_co_u32 v14, vcc_lo, v12, v16
	v_add_co_ci_u32_e32 v15, vcc_lo, v13, v16, vcc_lo
	s_delay_alu instid0(VALU_DEP_4) | instskip(NEXT) | instid1(VALU_DEP_4)
	v_add_co_u32 v8, vcc_lo, v9, v8
	v_add_co_ci_u32_e32 v9, vcc_lo, 0, v11, vcc_lo
	s_delay_alu instid0(VALU_DEP_4) | instskip(NEXT) | instid1(VALU_DEP_3)
	v_xor_b32_e32 v11, v14, v16
	v_add_co_u32 v14, vcc_lo, v6, v8
	s_delay_alu instid0(VALU_DEP_3) | instskip(SKIP_1) | instid1(VALU_DEP_3)
	v_add_co_ci_u32_e32 v17, vcc_lo, v7, v9, vcc_lo
	v_xor_b32_e32 v18, v15, v16
	v_mul_hi_u32 v19, v11, v14
	s_delay_alu instid0(VALU_DEP_3) | instskip(NEXT) | instid1(VALU_DEP_3)
	v_mad_u64_u32 v[6:7], null, v11, v17, 0
	v_mad_u64_u32 v[8:9], null, v18, v14, 0
	;; [unrolled: 1-line block ×3, first 2 shown]
	s_delay_alu instid0(VALU_DEP_3) | instskip(NEXT) | instid1(VALU_DEP_4)
	v_add_co_u32 v6, vcc_lo, v19, v6
	v_add_co_ci_u32_e32 v7, vcc_lo, 0, v7, vcc_lo
	s_delay_alu instid0(VALU_DEP_2) | instskip(NEXT) | instid1(VALU_DEP_2)
	v_add_co_u32 v6, vcc_lo, v6, v8
	v_add_co_ci_u32_e32 v6, vcc_lo, v7, v9, vcc_lo
	v_add_co_ci_u32_e32 v7, vcc_lo, 0, v15, vcc_lo
	s_delay_alu instid0(VALU_DEP_2) | instskip(NEXT) | instid1(VALU_DEP_2)
	v_add_co_u32 v8, vcc_lo, v6, v14
	v_add_co_ci_u32_e32 v9, vcc_lo, 0, v7, vcc_lo
	s_delay_alu instid0(VALU_DEP_2) | instskip(SKIP_1) | instid1(VALU_DEP_3)
	v_mul_lo_u32 v14, s7, v8
	v_mad_u64_u32 v[6:7], null, s6, v8, 0
	v_mul_lo_u32 v15, s6, v9
	s_delay_alu instid0(VALU_DEP_2) | instskip(NEXT) | instid1(VALU_DEP_2)
	v_sub_co_u32 v6, vcc_lo, v11, v6
	v_add3_u32 v7, v7, v15, v14
	s_delay_alu instid0(VALU_DEP_1) | instskip(NEXT) | instid1(VALU_DEP_1)
	v_sub_nc_u32_e32 v14, v18, v7
	v_subrev_co_ci_u32_e64 v11, s2, s7, v14, vcc_lo
	v_add_co_u32 v14, s2, v8, 2
	s_delay_alu instid0(VALU_DEP_1) | instskip(SKIP_3) | instid1(VALU_DEP_3)
	v_add_co_ci_u32_e64 v15, s2, 0, v9, s2
	v_sub_co_u32 v17, s2, v6, s6
	v_sub_co_ci_u32_e32 v7, vcc_lo, v18, v7, vcc_lo
	v_subrev_co_ci_u32_e64 v11, s2, 0, v11, s2
	v_cmp_le_u32_e32 vcc_lo, s6, v17
	s_delay_alu instid0(VALU_DEP_3) | instskip(SKIP_1) | instid1(VALU_DEP_4)
	v_cmp_eq_u32_e64 s2, s7, v7
	v_cndmask_b32_e64 v17, 0, -1, vcc_lo
	v_cmp_le_u32_e32 vcc_lo, s7, v11
	v_cndmask_b32_e64 v18, 0, -1, vcc_lo
	v_cmp_le_u32_e32 vcc_lo, s6, v6
	;; [unrolled: 2-line block ×3, first 2 shown]
	v_cndmask_b32_e64 v19, 0, -1, vcc_lo
	v_cmp_eq_u32_e32 vcc_lo, s7, v11
	s_delay_alu instid0(VALU_DEP_2) | instskip(SKIP_3) | instid1(VALU_DEP_3)
	v_cndmask_b32_e64 v6, v19, v6, s2
	v_cndmask_b32_e32 v11, v18, v17, vcc_lo
	v_add_co_u32 v17, vcc_lo, v8, 1
	v_add_co_ci_u32_e32 v18, vcc_lo, 0, v9, vcc_lo
	v_cmp_ne_u32_e32 vcc_lo, 0, v11
	s_delay_alu instid0(VALU_DEP_3) | instskip(NEXT) | instid1(VALU_DEP_3)
	v_cndmask_b32_e32 v11, v17, v14, vcc_lo
	v_cndmask_b32_e32 v7, v18, v15, vcc_lo
	v_cmp_ne_u32_e32 vcc_lo, 0, v6
	v_xor_b32_e32 v14, s4, v16
	s_delay_alu instid0(VALU_DEP_3) | instskip(SKIP_1) | instid1(VALU_DEP_2)
	v_cndmask_b32_e32 v6, v9, v7, vcc_lo
	v_cndmask_b32_e32 v7, v8, v11, vcc_lo
	v_xor_b32_e32 v8, v6, v14
	s_delay_alu instid0(VALU_DEP_2) | instskip(NEXT) | instid1(VALU_DEP_1)
	v_xor_b32_e32 v7, v7, v14
	v_sub_co_u32 v6, vcc_lo, v7, v14
	s_delay_alu instid0(VALU_DEP_3)
	v_sub_co_ci_u32_e32 v7, vcc_lo, v8, v14, vcc_lo
.LBB28_11:
	s_and_not1_saveexec_b32 s2, s3
	s_cbranch_execz .LBB28_13
; %bb.12:
	v_cvt_f32_u32_e32 v6, s22
	s_sub_i32 s3, 0, s22
	s_delay_alu instid0(VALU_DEP_1) | instskip(SKIP_2) | instid1(VALU_DEP_1)
	v_rcp_iflag_f32_e32 v6, v6
	s_waitcnt_depctr 0xfff
	v_mul_f32_e32 v6, 0x4f7ffffe, v6
	v_cvt_u32_f32_e32 v6, v6
	s_delay_alu instid0(VALU_DEP_1) | instskip(NEXT) | instid1(VALU_DEP_1)
	v_mul_lo_u32 v7, s3, v6
	v_mul_hi_u32 v7, v6, v7
	s_delay_alu instid0(VALU_DEP_1) | instskip(NEXT) | instid1(VALU_DEP_1)
	v_add_nc_u32_e32 v6, v6, v7
	v_mul_hi_u32 v6, v12, v6
	s_delay_alu instid0(VALU_DEP_1) | instskip(SKIP_1) | instid1(VALU_DEP_2)
	v_mul_lo_u32 v7, v6, s22
	v_add_nc_u32_e32 v8, 1, v6
	v_sub_nc_u32_e32 v7, v12, v7
	s_delay_alu instid0(VALU_DEP_1) | instskip(SKIP_1) | instid1(VALU_DEP_2)
	v_subrev_nc_u32_e32 v9, s22, v7
	v_cmp_le_u32_e32 vcc_lo, s22, v7
	v_dual_cndmask_b32 v7, v7, v9 :: v_dual_cndmask_b32 v6, v6, v8
	s_delay_alu instid0(VALU_DEP_1) | instskip(NEXT) | instid1(VALU_DEP_2)
	v_cmp_le_u32_e32 vcc_lo, s22, v7
	v_dual_mov_b32 v7, 0 :: v_dual_add_nc_u32 v8, 1, v6
	s_delay_alu instid0(VALU_DEP_1)
	v_cndmask_b32_e32 v6, v6, v8, vcc_lo
.LBB28_13:
	s_or_b32 exec_lo, exec_lo, s2
	s_load_b512 s[36:51], s[0:1], 0x40
	v_mov_b32_e32 v8, 0
	s_waitcnt lgkmcnt(0)
	s_mul_i32 s2, s42, s41
	s_mul_hi_u32 s4, s42, s40
	s_mul_i32 s5, s43, s40
	s_mul_i32 s3, s42, s40
	s_add_i32 s8, s4, s2
	s_mul_i32 s2, s3, s45
	s_mul_hi_u32 s4, s3, s44
	s_add_i32 s8, s8, s5
	s_add_i32 s2, s4, s2
	s_mul_i32 s4, s8, s44
	s_mul_i32 s10, s3, s44
	s_add_i32 s9, s2, s4
	s_delay_alu instid0(SALU_CYCLE_1) | instskip(NEXT) | instid1(VALU_DEP_1)
	v_or_b32_e32 v9, s9, v5
	v_cmp_ne_u64_e32 vcc_lo, 0, v[8:9]
                                        ; implicit-def: $vgpr8_vgpr9
	s_and_saveexec_b32 s2, vcc_lo
	s_delay_alu instid0(SALU_CYCLE_1)
	s_xor_b32 s11, exec_lo, s2
	s_cbranch_execz .LBB28_15
; %bb.14:
	s_ashr_i32 s4, s9, 31
	s_delay_alu instid0(SALU_CYCLE_1) | instskip(SKIP_2) | instid1(SALU_CYCLE_1)
	s_add_u32 s6, s10, s4
	s_mov_b32 s5, s4
	s_addc_u32 s7, s9, s4
	s_xor_b64 s[6:7], s[6:7], s[4:5]
	s_delay_alu instid0(SALU_CYCLE_1) | instskip(SKIP_3) | instid1(VALU_DEP_1)
	v_cvt_f32_u32_e32 v8, s6
	v_cvt_f32_u32_e32 v9, s7
	s_sub_u32 s2, 0, s6
	s_subb_u32 s5, 0, s7
	v_fmamk_f32 v8, v9, 0x4f800000, v8
	s_delay_alu instid0(VALU_DEP_1) | instskip(SKIP_2) | instid1(VALU_DEP_1)
	v_rcp_f32_e32 v8, v8
	s_waitcnt_depctr 0xfff
	v_mul_f32_e32 v8, 0x5f7ffffc, v8
	v_mul_f32_e32 v9, 0x2f800000, v8
	s_delay_alu instid0(VALU_DEP_1) | instskip(NEXT) | instid1(VALU_DEP_1)
	v_trunc_f32_e32 v9, v9
	v_fmamk_f32 v8, v9, 0xcf800000, v8
	v_cvt_u32_f32_e32 v9, v9
	s_delay_alu instid0(VALU_DEP_2) | instskip(NEXT) | instid1(VALU_DEP_2)
	v_cvt_u32_f32_e32 v8, v8
	v_mul_lo_u32 v11, s2, v9
	s_delay_alu instid0(VALU_DEP_2) | instskip(SKIP_1) | instid1(VALU_DEP_2)
	v_mul_hi_u32 v14, s2, v8
	v_mul_lo_u32 v15, s5, v8
	v_add_nc_u32_e32 v11, v14, v11
	v_mul_lo_u32 v14, s2, v8
	s_delay_alu instid0(VALU_DEP_2) | instskip(NEXT) | instid1(VALU_DEP_2)
	v_add_nc_u32_e32 v11, v11, v15
	v_mul_hi_u32 v15, v8, v14
	s_delay_alu instid0(VALU_DEP_2)
	v_mul_lo_u32 v16, v8, v11
	v_mul_hi_u32 v17, v8, v11
	v_mul_hi_u32 v18, v9, v14
	v_mul_lo_u32 v14, v9, v14
	v_mul_hi_u32 v19, v9, v11
	v_mul_lo_u32 v11, v9, v11
	v_add_co_u32 v15, vcc_lo, v15, v16
	v_add_co_ci_u32_e32 v16, vcc_lo, 0, v17, vcc_lo
	s_delay_alu instid0(VALU_DEP_2) | instskip(NEXT) | instid1(VALU_DEP_2)
	v_add_co_u32 v14, vcc_lo, v15, v14
	v_add_co_ci_u32_e32 v14, vcc_lo, v16, v18, vcc_lo
	v_add_co_ci_u32_e32 v15, vcc_lo, 0, v19, vcc_lo
	s_delay_alu instid0(VALU_DEP_2) | instskip(NEXT) | instid1(VALU_DEP_2)
	v_add_co_u32 v11, vcc_lo, v14, v11
	v_add_co_ci_u32_e32 v14, vcc_lo, 0, v15, vcc_lo
	s_delay_alu instid0(VALU_DEP_2) | instskip(NEXT) | instid1(VALU_DEP_2)
	v_add_co_u32 v8, vcc_lo, v8, v11
	v_add_co_ci_u32_e32 v9, vcc_lo, v9, v14, vcc_lo
	s_delay_alu instid0(VALU_DEP_2) | instskip(SKIP_1) | instid1(VALU_DEP_3)
	v_mul_hi_u32 v11, s2, v8
	v_mul_lo_u32 v15, s5, v8
	v_mul_lo_u32 v14, s2, v9
	s_delay_alu instid0(VALU_DEP_1) | instskip(SKIP_1) | instid1(VALU_DEP_2)
	v_add_nc_u32_e32 v11, v11, v14
	v_mul_lo_u32 v14, s2, v8
	v_add_nc_u32_e32 v11, v11, v15
	s_delay_alu instid0(VALU_DEP_2) | instskip(NEXT) | instid1(VALU_DEP_2)
	v_mul_hi_u32 v15, v8, v14
	v_mul_lo_u32 v16, v8, v11
	v_mul_hi_u32 v17, v8, v11
	v_mul_hi_u32 v18, v9, v14
	v_mul_lo_u32 v14, v9, v14
	v_mul_hi_u32 v19, v9, v11
	v_mul_lo_u32 v11, v9, v11
	v_add_co_u32 v15, vcc_lo, v15, v16
	v_add_co_ci_u32_e32 v16, vcc_lo, 0, v17, vcc_lo
	s_delay_alu instid0(VALU_DEP_2) | instskip(NEXT) | instid1(VALU_DEP_2)
	v_add_co_u32 v14, vcc_lo, v15, v14
	v_add_co_ci_u32_e32 v14, vcc_lo, v16, v18, vcc_lo
	v_add_co_ci_u32_e32 v15, vcc_lo, 0, v19, vcc_lo
	v_add_co_u32 v16, vcc_lo, v4, v10
	v_add_co_ci_u32_e32 v17, vcc_lo, v5, v10, vcc_lo
	s_delay_alu instid0(VALU_DEP_4) | instskip(NEXT) | instid1(VALU_DEP_4)
	v_add_co_u32 v11, vcc_lo, v14, v11
	v_add_co_ci_u32_e32 v14, vcc_lo, 0, v15, vcc_lo
	s_delay_alu instid0(VALU_DEP_4) | instskip(NEXT) | instid1(VALU_DEP_3)
	v_xor_b32_e32 v18, v16, v10
	v_add_co_u32 v11, vcc_lo, v8, v11
	s_delay_alu instid0(VALU_DEP_3) | instskip(SKIP_1) | instid1(VALU_DEP_3)
	v_add_co_ci_u32_e32 v19, vcc_lo, v9, v14, vcc_lo
	v_xor_b32_e32 v20, v17, v10
	v_mul_hi_u32 v21, v18, v11
	v_xor_b32_e32 v10, s4, v10
	s_delay_alu instid0(VALU_DEP_4) | instskip(NEXT) | instid1(VALU_DEP_4)
	v_mad_u64_u32 v[8:9], null, v18, v19, 0
	v_mad_u64_u32 v[14:15], null, v20, v11, 0
	;; [unrolled: 1-line block ×3, first 2 shown]
	s_delay_alu instid0(VALU_DEP_3) | instskip(NEXT) | instid1(VALU_DEP_4)
	v_add_co_u32 v8, vcc_lo, v21, v8
	v_add_co_ci_u32_e32 v9, vcc_lo, 0, v9, vcc_lo
	s_delay_alu instid0(VALU_DEP_2) | instskip(NEXT) | instid1(VALU_DEP_2)
	v_add_co_u32 v8, vcc_lo, v8, v14
	v_add_co_ci_u32_e32 v8, vcc_lo, v9, v15, vcc_lo
	v_add_co_ci_u32_e32 v9, vcc_lo, 0, v17, vcc_lo
	s_delay_alu instid0(VALU_DEP_2) | instskip(NEXT) | instid1(VALU_DEP_2)
	v_add_co_u32 v11, vcc_lo, v8, v16
	v_add_co_ci_u32_e32 v14, vcc_lo, 0, v9, vcc_lo
	s_delay_alu instid0(VALU_DEP_2) | instskip(SKIP_1) | instid1(VALU_DEP_3)
	v_mul_lo_u32 v15, s7, v11
	v_mad_u64_u32 v[8:9], null, s6, v11, 0
	v_mul_lo_u32 v16, s6, v14
	s_delay_alu instid0(VALU_DEP_2) | instskip(NEXT) | instid1(VALU_DEP_2)
	v_sub_co_u32 v8, vcc_lo, v18, v8
	v_add3_u32 v9, v9, v16, v15
	s_delay_alu instid0(VALU_DEP_1) | instskip(NEXT) | instid1(VALU_DEP_1)
	v_sub_nc_u32_e32 v15, v20, v9
	v_subrev_co_ci_u32_e64 v15, s2, s7, v15, vcc_lo
	v_add_co_u32 v16, s2, v11, 2
	s_delay_alu instid0(VALU_DEP_1) | instskip(SKIP_3) | instid1(VALU_DEP_3)
	v_add_co_ci_u32_e64 v17, s2, 0, v14, s2
	v_sub_co_u32 v18, s2, v8, s6
	v_sub_co_ci_u32_e32 v9, vcc_lo, v20, v9, vcc_lo
	v_subrev_co_ci_u32_e64 v15, s2, 0, v15, s2
	v_cmp_le_u32_e32 vcc_lo, s6, v18
	s_delay_alu instid0(VALU_DEP_3) | instskip(SKIP_1) | instid1(VALU_DEP_4)
	v_cmp_eq_u32_e64 s2, s7, v9
	v_cndmask_b32_e64 v18, 0, -1, vcc_lo
	v_cmp_le_u32_e32 vcc_lo, s7, v15
	v_cndmask_b32_e64 v19, 0, -1, vcc_lo
	v_cmp_le_u32_e32 vcc_lo, s6, v8
	;; [unrolled: 2-line block ×3, first 2 shown]
	v_cndmask_b32_e64 v20, 0, -1, vcc_lo
	v_cmp_eq_u32_e32 vcc_lo, s7, v15
	s_delay_alu instid0(VALU_DEP_2) | instskip(SKIP_3) | instid1(VALU_DEP_3)
	v_cndmask_b32_e64 v8, v20, v8, s2
	v_cndmask_b32_e32 v15, v19, v18, vcc_lo
	v_add_co_u32 v18, vcc_lo, v11, 1
	v_add_co_ci_u32_e32 v19, vcc_lo, 0, v14, vcc_lo
	v_cmp_ne_u32_e32 vcc_lo, 0, v15
	s_delay_alu instid0(VALU_DEP_2) | instskip(NEXT) | instid1(VALU_DEP_4)
	v_cndmask_b32_e32 v9, v19, v17, vcc_lo
	v_cndmask_b32_e32 v15, v18, v16, vcc_lo
	v_cmp_ne_u32_e32 vcc_lo, 0, v8
	s_delay_alu instid0(VALU_DEP_2) | instskip(NEXT) | instid1(VALU_DEP_1)
	v_dual_cndmask_b32 v8, v14, v9 :: v_dual_cndmask_b32 v9, v11, v15
	v_xor_b32_e32 v11, v8, v10
	s_delay_alu instid0(VALU_DEP_2) | instskip(NEXT) | instid1(VALU_DEP_1)
	v_xor_b32_e32 v9, v9, v10
	v_sub_co_u32 v8, vcc_lo, v9, v10
	s_delay_alu instid0(VALU_DEP_3)
	v_sub_co_ci_u32_e32 v9, vcc_lo, v11, v10, vcc_lo
.LBB28_15:
	s_and_not1_saveexec_b32 s2, s11
	s_cbranch_execz .LBB28_17
; %bb.16:
	v_cvt_f32_u32_e32 v8, s10
	s_sub_i32 s4, 0, s10
	s_delay_alu instid0(VALU_DEP_1) | instskip(SKIP_2) | instid1(VALU_DEP_1)
	v_rcp_iflag_f32_e32 v8, v8
	s_waitcnt_depctr 0xfff
	v_mul_f32_e32 v8, 0x4f7ffffe, v8
	v_cvt_u32_f32_e32 v8, v8
	s_delay_alu instid0(VALU_DEP_1) | instskip(NEXT) | instid1(VALU_DEP_1)
	v_mul_lo_u32 v9, s4, v8
	v_mul_hi_u32 v9, v8, v9
	s_delay_alu instid0(VALU_DEP_1) | instskip(NEXT) | instid1(VALU_DEP_1)
	v_add_nc_u32_e32 v8, v8, v9
	v_mul_hi_u32 v8, v4, v8
	s_delay_alu instid0(VALU_DEP_1) | instskip(SKIP_1) | instid1(VALU_DEP_2)
	v_mul_lo_u32 v9, v8, s10
	v_add_nc_u32_e32 v10, 1, v8
	v_sub_nc_u32_e32 v9, v4, v9
	s_delay_alu instid0(VALU_DEP_1) | instskip(SKIP_1) | instid1(VALU_DEP_2)
	v_subrev_nc_u32_e32 v11, s10, v9
	v_cmp_le_u32_e32 vcc_lo, s10, v9
	v_dual_cndmask_b32 v9, v9, v11 :: v_dual_cndmask_b32 v8, v8, v10
	s_delay_alu instid0(VALU_DEP_1) | instskip(NEXT) | instid1(VALU_DEP_2)
	v_cmp_le_u32_e32 vcc_lo, s10, v9
	v_dual_mov_b32 v9, 0 :: v_dual_add_nc_u32 v10, 1, v8
	s_delay_alu instid0(VALU_DEP_1)
	v_cndmask_b32_e32 v8, v8, v10, vcc_lo
.LBB28_17:
	s_or_b32 exec_lo, exec_lo, s2
	s_delay_alu instid0(VALU_DEP_1) | instskip(NEXT) | instid1(VALU_DEP_2)
	v_mul_lo_u32 v14, s9, v8
	v_mul_lo_u32 v15, s10, v9
	v_mad_u64_u32 v[10:11], null, s10, v8, 0
	s_delay_alu instid0(VALU_DEP_1) | instskip(NEXT) | instid1(VALU_DEP_2)
	v_add3_u32 v11, v11, v15, v14
	v_sub_co_u32 v10, vcc_lo, v4, v10
	v_mov_b32_e32 v4, 0
	s_delay_alu instid0(VALU_DEP_3) | instskip(NEXT) | instid1(VALU_DEP_1)
	v_sub_co_ci_u32_e32 v11, vcc_lo, v5, v11, vcc_lo
	v_or_b32_e32 v5, s8, v11
	s_delay_alu instid0(VALU_DEP_1) | instskip(SKIP_1) | instid1(SALU_CYCLE_1)
	v_cmp_ne_u64_e32 vcc_lo, 0, v[4:5]
                                        ; implicit-def: $vgpr4_vgpr5
	s_and_saveexec_b32 s2, vcc_lo
	s_xor_b32 s9, exec_lo, s2
	s_cbranch_execz .LBB28_19
; %bb.18:
	s_ashr_i32 s4, s8, 31
	s_delay_alu instid0(SALU_CYCLE_1) | instskip(SKIP_2) | instid1(SALU_CYCLE_1)
	s_add_u32 s6, s3, s4
	s_mov_b32 s5, s4
	s_addc_u32 s7, s8, s4
	s_xor_b64 s[6:7], s[6:7], s[4:5]
	s_delay_alu instid0(SALU_CYCLE_1) | instskip(SKIP_3) | instid1(VALU_DEP_1)
	v_cvt_f32_u32_e32 v4, s6
	v_cvt_f32_u32_e32 v5, s7
	s_sub_u32 s2, 0, s6
	s_subb_u32 s5, 0, s7
	v_fmamk_f32 v4, v5, 0x4f800000, v4
	s_delay_alu instid0(VALU_DEP_1) | instskip(SKIP_2) | instid1(VALU_DEP_1)
	v_rcp_f32_e32 v4, v4
	s_waitcnt_depctr 0xfff
	v_mul_f32_e32 v4, 0x5f7ffffc, v4
	v_mul_f32_e32 v5, 0x2f800000, v4
	s_delay_alu instid0(VALU_DEP_1) | instskip(NEXT) | instid1(VALU_DEP_1)
	v_trunc_f32_e32 v5, v5
	v_fmamk_f32 v4, v5, 0xcf800000, v4
	v_cvt_u32_f32_e32 v5, v5
	s_delay_alu instid0(VALU_DEP_2) | instskip(NEXT) | instid1(VALU_DEP_2)
	v_cvt_u32_f32_e32 v4, v4
	v_mul_lo_u32 v14, s2, v5
	s_delay_alu instid0(VALU_DEP_2) | instskip(SKIP_1) | instid1(VALU_DEP_2)
	v_mul_hi_u32 v15, s2, v4
	v_mul_lo_u32 v16, s5, v4
	v_add_nc_u32_e32 v14, v15, v14
	v_mul_lo_u32 v15, s2, v4
	s_delay_alu instid0(VALU_DEP_2) | instskip(NEXT) | instid1(VALU_DEP_2)
	v_add_nc_u32_e32 v14, v14, v16
	v_mul_hi_u32 v16, v4, v15
	s_delay_alu instid0(VALU_DEP_2)
	v_mul_lo_u32 v17, v4, v14
	v_mul_hi_u32 v18, v4, v14
	v_mul_hi_u32 v19, v5, v15
	v_mul_lo_u32 v15, v5, v15
	v_mul_hi_u32 v20, v5, v14
	v_mul_lo_u32 v14, v5, v14
	v_add_co_u32 v16, vcc_lo, v16, v17
	v_add_co_ci_u32_e32 v17, vcc_lo, 0, v18, vcc_lo
	s_delay_alu instid0(VALU_DEP_2) | instskip(NEXT) | instid1(VALU_DEP_2)
	v_add_co_u32 v15, vcc_lo, v16, v15
	v_add_co_ci_u32_e32 v15, vcc_lo, v17, v19, vcc_lo
	v_add_co_ci_u32_e32 v16, vcc_lo, 0, v20, vcc_lo
	v_ashrrev_i32_e32 v19, 31, v11
	s_delay_alu instid0(VALU_DEP_3) | instskip(NEXT) | instid1(VALU_DEP_3)
	v_add_co_u32 v14, vcc_lo, v15, v14
	v_add_co_ci_u32_e32 v15, vcc_lo, 0, v16, vcc_lo
	s_delay_alu instid0(VALU_DEP_2) | instskip(NEXT) | instid1(VALU_DEP_2)
	v_add_co_u32 v4, vcc_lo, v4, v14
	v_add_co_ci_u32_e32 v5, vcc_lo, v5, v15, vcc_lo
	s_delay_alu instid0(VALU_DEP_2) | instskip(SKIP_1) | instid1(VALU_DEP_3)
	v_mul_hi_u32 v14, s2, v4
	v_mul_lo_u32 v16, s5, v4
	v_mul_lo_u32 v15, s2, v5
	s_delay_alu instid0(VALU_DEP_1) | instskip(SKIP_1) | instid1(VALU_DEP_2)
	v_add_nc_u32_e32 v14, v14, v15
	v_mul_lo_u32 v15, s2, v4
	v_add_nc_u32_e32 v14, v14, v16
	s_delay_alu instid0(VALU_DEP_2) | instskip(NEXT) | instid1(VALU_DEP_2)
	v_mul_hi_u32 v16, v4, v15
	v_mul_lo_u32 v17, v4, v14
	v_mul_hi_u32 v18, v4, v14
	v_mul_hi_u32 v20, v5, v15
	v_mul_lo_u32 v15, v5, v15
	v_mul_hi_u32 v21, v5, v14
	v_mul_lo_u32 v14, v5, v14
	v_add_co_u32 v16, vcc_lo, v16, v17
	v_add_co_ci_u32_e32 v17, vcc_lo, 0, v18, vcc_lo
	s_delay_alu instid0(VALU_DEP_2) | instskip(NEXT) | instid1(VALU_DEP_2)
	v_add_co_u32 v15, vcc_lo, v16, v15
	v_add_co_ci_u32_e32 v15, vcc_lo, v17, v20, vcc_lo
	v_add_co_ci_u32_e32 v16, vcc_lo, 0, v21, vcc_lo
	v_add_co_u32 v17, vcc_lo, v10, v19
	v_add_co_ci_u32_e32 v18, vcc_lo, v11, v19, vcc_lo
	s_delay_alu instid0(VALU_DEP_4) | instskip(NEXT) | instid1(VALU_DEP_4)
	v_add_co_u32 v14, vcc_lo, v15, v14
	v_add_co_ci_u32_e32 v15, vcc_lo, 0, v16, vcc_lo
	s_delay_alu instid0(VALU_DEP_4) | instskip(NEXT) | instid1(VALU_DEP_3)
	v_xor_b32_e32 v20, v17, v19
	v_add_co_u32 v16, vcc_lo, v4, v14
	s_delay_alu instid0(VALU_DEP_3) | instskip(SKIP_1) | instid1(VALU_DEP_3)
	v_add_co_ci_u32_e32 v21, vcc_lo, v5, v15, vcc_lo
	v_xor_b32_e32 v18, v18, v19
	v_mul_hi_u32 v22, v20, v16
	s_delay_alu instid0(VALU_DEP_3) | instskip(NEXT) | instid1(VALU_DEP_3)
	v_mad_u64_u32 v[4:5], null, v20, v21, 0
	v_mad_u64_u32 v[14:15], null, v18, v16, 0
	;; [unrolled: 1-line block ×3, first 2 shown]
	s_delay_alu instid0(VALU_DEP_3) | instskip(NEXT) | instid1(VALU_DEP_4)
	v_add_co_u32 v4, vcc_lo, v22, v4
	v_add_co_ci_u32_e32 v5, vcc_lo, 0, v5, vcc_lo
	s_delay_alu instid0(VALU_DEP_2) | instskip(NEXT) | instid1(VALU_DEP_2)
	v_add_co_u32 v4, vcc_lo, v4, v14
	v_add_co_ci_u32_e32 v4, vcc_lo, v5, v15, vcc_lo
	v_add_co_ci_u32_e32 v5, vcc_lo, 0, v17, vcc_lo
	s_delay_alu instid0(VALU_DEP_2) | instskip(NEXT) | instid1(VALU_DEP_2)
	v_add_co_u32 v14, vcc_lo, v4, v16
	v_add_co_ci_u32_e32 v15, vcc_lo, 0, v5, vcc_lo
	s_delay_alu instid0(VALU_DEP_2) | instskip(SKIP_1) | instid1(VALU_DEP_3)
	v_mul_lo_u32 v16, s7, v14
	v_mad_u64_u32 v[4:5], null, s6, v14, 0
	v_mul_lo_u32 v17, s6, v15
	s_delay_alu instid0(VALU_DEP_2) | instskip(NEXT) | instid1(VALU_DEP_2)
	v_sub_co_u32 v4, vcc_lo, v20, v4
	v_add3_u32 v5, v5, v17, v16
	s_delay_alu instid0(VALU_DEP_1) | instskip(NEXT) | instid1(VALU_DEP_1)
	v_sub_nc_u32_e32 v16, v18, v5
	v_subrev_co_ci_u32_e64 v16, s2, s7, v16, vcc_lo
	v_add_co_u32 v17, s2, v14, 2
	s_delay_alu instid0(VALU_DEP_1) | instskip(SKIP_3) | instid1(VALU_DEP_3)
	v_add_co_ci_u32_e64 v20, s2, 0, v15, s2
	v_sub_co_u32 v21, s2, v4, s6
	v_sub_co_ci_u32_e32 v5, vcc_lo, v18, v5, vcc_lo
	v_subrev_co_ci_u32_e64 v16, s2, 0, v16, s2
	v_cmp_le_u32_e32 vcc_lo, s6, v21
	s_delay_alu instid0(VALU_DEP_3) | instskip(SKIP_1) | instid1(VALU_DEP_4)
	v_cmp_eq_u32_e64 s2, s7, v5
	v_cndmask_b32_e64 v18, 0, -1, vcc_lo
	v_cmp_le_u32_e32 vcc_lo, s7, v16
	v_cndmask_b32_e64 v21, 0, -1, vcc_lo
	v_cmp_le_u32_e32 vcc_lo, s6, v4
	;; [unrolled: 2-line block ×3, first 2 shown]
	v_cndmask_b32_e64 v22, 0, -1, vcc_lo
	v_cmp_eq_u32_e32 vcc_lo, s7, v16
	s_delay_alu instid0(VALU_DEP_2) | instskip(SKIP_3) | instid1(VALU_DEP_3)
	v_cndmask_b32_e64 v4, v22, v4, s2
	v_cndmask_b32_e32 v16, v21, v18, vcc_lo
	v_add_co_u32 v18, vcc_lo, v14, 1
	v_add_co_ci_u32_e32 v21, vcc_lo, 0, v15, vcc_lo
	v_cmp_ne_u32_e32 vcc_lo, 0, v16
	s_delay_alu instid0(VALU_DEP_2) | instskip(SKIP_2) | instid1(VALU_DEP_3)
	v_dual_cndmask_b32 v5, v21, v20 :: v_dual_cndmask_b32 v16, v18, v17
	v_cmp_ne_u32_e32 vcc_lo, 0, v4
	v_xor_b32_e32 v17, s4, v19
	v_dual_cndmask_b32 v4, v15, v5 :: v_dual_cndmask_b32 v5, v14, v16
	s_delay_alu instid0(VALU_DEP_1) | instskip(NEXT) | instid1(VALU_DEP_2)
	v_xor_b32_e32 v14, v4, v17
	v_xor_b32_e32 v5, v5, v17
	s_delay_alu instid0(VALU_DEP_1) | instskip(NEXT) | instid1(VALU_DEP_3)
	v_sub_co_u32 v4, vcc_lo, v5, v17
	v_sub_co_ci_u32_e32 v5, vcc_lo, v14, v17, vcc_lo
.LBB28_19:
	s_and_not1_saveexec_b32 s2, s9
	s_cbranch_execz .LBB28_21
; %bb.20:
	v_cvt_f32_u32_e32 v4, s3
	s_sub_i32 s4, 0, s3
	s_delay_alu instid0(VALU_DEP_1) | instskip(SKIP_2) | instid1(VALU_DEP_1)
	v_rcp_iflag_f32_e32 v4, v4
	s_waitcnt_depctr 0xfff
	v_mul_f32_e32 v4, 0x4f7ffffe, v4
	v_cvt_u32_f32_e32 v4, v4
	s_delay_alu instid0(VALU_DEP_1) | instskip(NEXT) | instid1(VALU_DEP_1)
	v_mul_lo_u32 v5, s4, v4
	v_mul_hi_u32 v5, v4, v5
	s_delay_alu instid0(VALU_DEP_1) | instskip(NEXT) | instid1(VALU_DEP_1)
	v_add_nc_u32_e32 v4, v4, v5
	v_mul_hi_u32 v4, v10, v4
	s_delay_alu instid0(VALU_DEP_1) | instskip(SKIP_1) | instid1(VALU_DEP_2)
	v_mul_lo_u32 v5, v4, s3
	v_add_nc_u32_e32 v14, 1, v4
	v_sub_nc_u32_e32 v5, v10, v5
	s_delay_alu instid0(VALU_DEP_1) | instskip(SKIP_1) | instid1(VALU_DEP_2)
	v_subrev_nc_u32_e32 v15, s3, v5
	v_cmp_le_u32_e32 vcc_lo, s3, v5
	v_dual_cndmask_b32 v5, v5, v15 :: v_dual_cndmask_b32 v4, v4, v14
	s_delay_alu instid0(VALU_DEP_1) | instskip(NEXT) | instid1(VALU_DEP_2)
	v_cmp_le_u32_e32 vcc_lo, s3, v5
	v_dual_mov_b32 v5, 0 :: v_dual_add_nc_u32 v14, 1, v4
	s_delay_alu instid0(VALU_DEP_1)
	v_cndmask_b32_e32 v4, v4, v14, vcc_lo
.LBB28_21:
	s_or_b32 exec_lo, exec_lo, s2
	s_delay_alu instid0(VALU_DEP_1) | instskip(NEXT) | instid1(VALU_DEP_2)
	v_mul_lo_u32 v16, s8, v4
	v_mul_lo_u32 v17, s3, v5
	v_mad_u64_u32 v[14:15], null, s3, v4, 0
	s_delay_alu instid0(VALU_DEP_1) | instskip(NEXT) | instid1(VALU_DEP_2)
	v_add3_u32 v15, v15, v17, v16
	v_sub_co_u32 v14, vcc_lo, v10, v14
	v_mov_b32_e32 v10, 0
	s_delay_alu instid0(VALU_DEP_3) | instskip(NEXT) | instid1(VALU_DEP_1)
	v_sub_co_ci_u32_e32 v15, vcc_lo, v11, v15, vcc_lo
	v_or_b32_e32 v11, s41, v15
	s_delay_alu instid0(VALU_DEP_1) | instskip(SKIP_1) | instid1(SALU_CYCLE_1)
	v_cmp_ne_u64_e32 vcc_lo, 0, v[10:11]
                                        ; implicit-def: $vgpr10_vgpr11
	s_and_saveexec_b32 s2, vcc_lo
	s_xor_b32 s3, exec_lo, s2
	s_cbranch_execz .LBB28_23
; %bb.22:
	s_ashr_i32 s4, s41, 31
	s_delay_alu instid0(SALU_CYCLE_1) | instskip(SKIP_2) | instid1(SALU_CYCLE_1)
	s_add_u32 s6, s40, s4
	s_mov_b32 s5, s4
	s_addc_u32 s7, s41, s4
	s_xor_b64 s[6:7], s[6:7], s[4:5]
	s_delay_alu instid0(SALU_CYCLE_1) | instskip(SKIP_3) | instid1(VALU_DEP_1)
	v_cvt_f32_u32_e32 v10, s6
	v_cvt_f32_u32_e32 v11, s7
	s_sub_u32 s2, 0, s6
	s_subb_u32 s5, 0, s7
	v_fmamk_f32 v10, v11, 0x4f800000, v10
	s_delay_alu instid0(VALU_DEP_1) | instskip(SKIP_2) | instid1(VALU_DEP_1)
	v_rcp_f32_e32 v10, v10
	s_waitcnt_depctr 0xfff
	v_mul_f32_e32 v10, 0x5f7ffffc, v10
	v_mul_f32_e32 v11, 0x2f800000, v10
	s_delay_alu instid0(VALU_DEP_1) | instskip(NEXT) | instid1(VALU_DEP_1)
	v_trunc_f32_e32 v11, v11
	v_fmamk_f32 v10, v11, 0xcf800000, v10
	v_cvt_u32_f32_e32 v11, v11
	s_delay_alu instid0(VALU_DEP_2) | instskip(NEXT) | instid1(VALU_DEP_2)
	v_cvt_u32_f32_e32 v10, v10
	v_mul_lo_u32 v16, s2, v11
	s_delay_alu instid0(VALU_DEP_2) | instskip(SKIP_1) | instid1(VALU_DEP_2)
	v_mul_hi_u32 v17, s2, v10
	v_mul_lo_u32 v18, s5, v10
	v_add_nc_u32_e32 v16, v17, v16
	v_mul_lo_u32 v17, s2, v10
	s_delay_alu instid0(VALU_DEP_2) | instskip(NEXT) | instid1(VALU_DEP_2)
	v_add_nc_u32_e32 v16, v16, v18
	v_mul_hi_u32 v18, v10, v17
	s_delay_alu instid0(VALU_DEP_2)
	v_mul_lo_u32 v19, v10, v16
	v_mul_hi_u32 v20, v10, v16
	v_mul_hi_u32 v21, v11, v17
	v_mul_lo_u32 v17, v11, v17
	v_mul_hi_u32 v22, v11, v16
	v_mul_lo_u32 v16, v11, v16
	v_add_co_u32 v18, vcc_lo, v18, v19
	v_add_co_ci_u32_e32 v19, vcc_lo, 0, v20, vcc_lo
	s_delay_alu instid0(VALU_DEP_2) | instskip(NEXT) | instid1(VALU_DEP_2)
	v_add_co_u32 v17, vcc_lo, v18, v17
	v_add_co_ci_u32_e32 v17, vcc_lo, v19, v21, vcc_lo
	v_add_co_ci_u32_e32 v18, vcc_lo, 0, v22, vcc_lo
	v_ashrrev_i32_e32 v21, 31, v15
	s_delay_alu instid0(VALU_DEP_3) | instskip(NEXT) | instid1(VALU_DEP_3)
	v_add_co_u32 v16, vcc_lo, v17, v16
	v_add_co_ci_u32_e32 v17, vcc_lo, 0, v18, vcc_lo
	s_delay_alu instid0(VALU_DEP_2) | instskip(NEXT) | instid1(VALU_DEP_2)
	v_add_co_u32 v10, vcc_lo, v10, v16
	v_add_co_ci_u32_e32 v11, vcc_lo, v11, v17, vcc_lo
	s_delay_alu instid0(VALU_DEP_2) | instskip(SKIP_1) | instid1(VALU_DEP_3)
	v_mul_hi_u32 v16, s2, v10
	v_mul_lo_u32 v18, s5, v10
	v_mul_lo_u32 v17, s2, v11
	s_delay_alu instid0(VALU_DEP_1) | instskip(SKIP_1) | instid1(VALU_DEP_2)
	v_add_nc_u32_e32 v16, v16, v17
	v_mul_lo_u32 v17, s2, v10
	v_add_nc_u32_e32 v16, v16, v18
	s_delay_alu instid0(VALU_DEP_2) | instskip(NEXT) | instid1(VALU_DEP_2)
	v_mul_hi_u32 v18, v10, v17
	v_mul_lo_u32 v19, v10, v16
	v_mul_hi_u32 v20, v10, v16
	v_mul_hi_u32 v22, v11, v17
	v_mul_lo_u32 v17, v11, v17
	v_mul_hi_u32 v23, v11, v16
	v_mul_lo_u32 v16, v11, v16
	v_add_co_u32 v18, vcc_lo, v18, v19
	v_add_co_ci_u32_e32 v19, vcc_lo, 0, v20, vcc_lo
	s_delay_alu instid0(VALU_DEP_2) | instskip(NEXT) | instid1(VALU_DEP_2)
	v_add_co_u32 v17, vcc_lo, v18, v17
	v_add_co_ci_u32_e32 v17, vcc_lo, v19, v22, vcc_lo
	v_add_co_ci_u32_e32 v18, vcc_lo, 0, v23, vcc_lo
	v_add_co_u32 v19, vcc_lo, v14, v21
	v_add_co_ci_u32_e32 v20, vcc_lo, v15, v21, vcc_lo
	s_delay_alu instid0(VALU_DEP_4) | instskip(NEXT) | instid1(VALU_DEP_4)
	v_add_co_u32 v16, vcc_lo, v17, v16
	v_add_co_ci_u32_e32 v17, vcc_lo, 0, v18, vcc_lo
	s_delay_alu instid0(VALU_DEP_4) | instskip(NEXT) | instid1(VALU_DEP_3)
	v_xor_b32_e32 v22, v19, v21
	v_add_co_u32 v18, vcc_lo, v10, v16
	s_delay_alu instid0(VALU_DEP_3) | instskip(SKIP_1) | instid1(VALU_DEP_3)
	v_add_co_ci_u32_e32 v23, vcc_lo, v11, v17, vcc_lo
	v_xor_b32_e32 v20, v20, v21
	v_mul_hi_u32 v24, v22, v18
	s_delay_alu instid0(VALU_DEP_3) | instskip(NEXT) | instid1(VALU_DEP_3)
	v_mad_u64_u32 v[10:11], null, v22, v23, 0
	v_mad_u64_u32 v[16:17], null, v20, v18, 0
	;; [unrolled: 1-line block ×3, first 2 shown]
	s_delay_alu instid0(VALU_DEP_3) | instskip(NEXT) | instid1(VALU_DEP_4)
	v_add_co_u32 v10, vcc_lo, v24, v10
	v_add_co_ci_u32_e32 v11, vcc_lo, 0, v11, vcc_lo
	s_delay_alu instid0(VALU_DEP_2) | instskip(NEXT) | instid1(VALU_DEP_2)
	v_add_co_u32 v10, vcc_lo, v10, v16
	v_add_co_ci_u32_e32 v10, vcc_lo, v11, v17, vcc_lo
	v_add_co_ci_u32_e32 v11, vcc_lo, 0, v19, vcc_lo
	s_delay_alu instid0(VALU_DEP_2) | instskip(NEXT) | instid1(VALU_DEP_2)
	v_add_co_u32 v16, vcc_lo, v10, v18
	v_add_co_ci_u32_e32 v17, vcc_lo, 0, v11, vcc_lo
	s_delay_alu instid0(VALU_DEP_2) | instskip(SKIP_1) | instid1(VALU_DEP_3)
	v_mul_lo_u32 v18, s7, v16
	v_mad_u64_u32 v[10:11], null, s6, v16, 0
	v_mul_lo_u32 v19, s6, v17
	s_delay_alu instid0(VALU_DEP_2) | instskip(NEXT) | instid1(VALU_DEP_2)
	v_sub_co_u32 v10, vcc_lo, v22, v10
	v_add3_u32 v11, v11, v19, v18
	s_delay_alu instid0(VALU_DEP_1) | instskip(NEXT) | instid1(VALU_DEP_1)
	v_sub_nc_u32_e32 v18, v20, v11
	v_subrev_co_ci_u32_e64 v18, s2, s7, v18, vcc_lo
	v_add_co_u32 v19, s2, v16, 2
	s_delay_alu instid0(VALU_DEP_1) | instskip(SKIP_3) | instid1(VALU_DEP_3)
	v_add_co_ci_u32_e64 v22, s2, 0, v17, s2
	v_sub_co_u32 v23, s2, v10, s6
	v_sub_co_ci_u32_e32 v11, vcc_lo, v20, v11, vcc_lo
	v_subrev_co_ci_u32_e64 v18, s2, 0, v18, s2
	v_cmp_le_u32_e32 vcc_lo, s6, v23
	s_delay_alu instid0(VALU_DEP_3) | instskip(SKIP_1) | instid1(VALU_DEP_4)
	v_cmp_eq_u32_e64 s2, s7, v11
	v_cndmask_b32_e64 v20, 0, -1, vcc_lo
	v_cmp_le_u32_e32 vcc_lo, s7, v18
	v_cndmask_b32_e64 v23, 0, -1, vcc_lo
	v_cmp_le_u32_e32 vcc_lo, s6, v10
	;; [unrolled: 2-line block ×3, first 2 shown]
	v_cndmask_b32_e64 v24, 0, -1, vcc_lo
	v_cmp_eq_u32_e32 vcc_lo, s7, v18
	s_delay_alu instid0(VALU_DEP_2) | instskip(SKIP_3) | instid1(VALU_DEP_3)
	v_cndmask_b32_e64 v10, v24, v10, s2
	v_cndmask_b32_e32 v18, v23, v20, vcc_lo
	v_add_co_u32 v20, vcc_lo, v16, 1
	v_add_co_ci_u32_e32 v23, vcc_lo, 0, v17, vcc_lo
	v_cmp_ne_u32_e32 vcc_lo, 0, v18
	s_delay_alu instid0(VALU_DEP_2) | instskip(SKIP_2) | instid1(VALU_DEP_3)
	v_dual_cndmask_b32 v11, v23, v22 :: v_dual_cndmask_b32 v18, v20, v19
	v_cmp_ne_u32_e32 vcc_lo, 0, v10
	v_xor_b32_e32 v19, s4, v21
	v_dual_cndmask_b32 v10, v17, v11 :: v_dual_cndmask_b32 v11, v16, v18
	s_delay_alu instid0(VALU_DEP_1) | instskip(NEXT) | instid1(VALU_DEP_2)
	v_xor_b32_e32 v16, v10, v19
	v_xor_b32_e32 v11, v11, v19
	s_delay_alu instid0(VALU_DEP_1) | instskip(NEXT) | instid1(VALU_DEP_3)
	v_sub_co_u32 v10, vcc_lo, v11, v19
	v_sub_co_ci_u32_e32 v11, vcc_lo, v16, v19, vcc_lo
.LBB28_23:
	s_and_not1_saveexec_b32 s2, s3
	s_cbranch_execz .LBB28_25
; %bb.24:
	v_cvt_f32_u32_e32 v10, s40
	s_sub_i32 s3, 0, s40
	s_delay_alu instid0(VALU_DEP_1) | instskip(SKIP_2) | instid1(VALU_DEP_1)
	v_rcp_iflag_f32_e32 v10, v10
	s_waitcnt_depctr 0xfff
	v_mul_f32_e32 v10, 0x4f7ffffe, v10
	v_cvt_u32_f32_e32 v10, v10
	s_delay_alu instid0(VALU_DEP_1) | instskip(NEXT) | instid1(VALU_DEP_1)
	v_mul_lo_u32 v11, s3, v10
	v_mul_hi_u32 v11, v10, v11
	s_delay_alu instid0(VALU_DEP_1) | instskip(NEXT) | instid1(VALU_DEP_1)
	v_add_nc_u32_e32 v10, v10, v11
	v_mul_hi_u32 v10, v14, v10
	s_delay_alu instid0(VALU_DEP_1) | instskip(SKIP_1) | instid1(VALU_DEP_2)
	v_mul_lo_u32 v11, v10, s40
	v_add_nc_u32_e32 v16, 1, v10
	v_sub_nc_u32_e32 v11, v14, v11
	s_delay_alu instid0(VALU_DEP_1) | instskip(SKIP_1) | instid1(VALU_DEP_2)
	v_subrev_nc_u32_e32 v17, s40, v11
	v_cmp_le_u32_e32 vcc_lo, s40, v11
	v_dual_cndmask_b32 v11, v11, v17 :: v_dual_cndmask_b32 v10, v10, v16
	s_delay_alu instid0(VALU_DEP_1) | instskip(NEXT) | instid1(VALU_DEP_2)
	v_cmp_le_u32_e32 vcc_lo, s40, v11
	v_dual_mov_b32 v11, 0 :: v_dual_add_nc_u32 v16, 1, v10
	s_delay_alu instid0(VALU_DEP_1)
	v_cndmask_b32_e32 v10, v10, v16, vcc_lo
.LBB28_25:
	s_or_b32 exec_lo, exec_lo, s2
	v_mul_lo_u32 v18, v7, s22
	v_mul_lo_u32 v19, v6, s23
	v_mad_u64_u32 v[16:17], null, v6, s22, 0
	v_mul_lo_u32 v7, v7, s30
	v_mul_lo_u32 v3, v3, s36
	s_load_b64 s[0:1], s[0:1], 0x80
	s_delay_alu instid0(VALU_DEP_3) | instskip(NEXT) | instid1(VALU_DEP_4)
	v_add3_u32 v17, v17, v19, v18
	v_sub_co_u32 v16, vcc_lo, v12, v16
	s_delay_alu instid0(VALU_DEP_2) | instskip(NEXT) | instid1(VALU_DEP_2)
	v_sub_co_ci_u32_e32 v17, vcc_lo, v13, v17, vcc_lo
	v_mul_lo_u32 v18, v16, s29
	v_mad_u64_u32 v[12:13], null, v16, s28, s[16:17]
	s_delay_alu instid0(VALU_DEP_3) | instskip(NEXT) | instid1(VALU_DEP_1)
	v_mul_lo_u32 v16, v17, s28
	v_add3_u32 v13, v16, v13, v18
	v_mul_lo_u32 v18, v6, s31
	s_delay_alu instid0(VALU_DEP_2) | instskip(SKIP_1) | instid1(VALU_DEP_2)
	v_mad_u64_u32 v[16:17], null, v6, s30, v[12:13]
	v_mul_lo_u32 v12, v2, s37
	v_add3_u32 v17, v7, v17, v18
	s_delay_alu instid0(VALU_DEP_1) | instskip(NEXT) | instid1(VALU_DEP_1)
	v_mad_u64_u32 v[6:7], null, v2, s36, v[16:17]
	v_add3_u32 v7, v3, v7, v12
	v_mul_lo_u32 v12, v0, s39
	s_delay_alu instid0(VALU_DEP_2) | instskip(SKIP_1) | instid1(VALU_DEP_1)
	v_mad_u64_u32 v[2:3], null, v0, s38, v[6:7]
	v_mul_lo_u32 v0, v1, s38
	v_add3_u32 v3, v0, v3, v12
	v_mad_u64_u32 v[0:1], null, v10, s40, 0
	global_load_u16 v6, v[2:3], off
	v_mul_lo_u32 v2, v11, s40
	v_mul_lo_u32 v3, v10, s41
	s_delay_alu instid0(VALU_DEP_1) | instskip(SKIP_1) | instid1(VALU_DEP_2)
	v_add3_u32 v1, v1, v3, v2
	v_sub_co_u32 v2, vcc_lo, v14, v0
	v_sub_co_ci_u32_e32 v0, vcc_lo, v15, v1, vcc_lo
	s_delay_alu instid0(VALU_DEP_2) | instskip(NEXT) | instid1(VALU_DEP_2)
	v_mul_lo_u32 v3, v2, s47
	v_mul_lo_u32 v7, v0, s46
	v_mad_u64_u32 v[0:1], null, v2, s46, s[18:19]
	s_delay_alu instid0(VALU_DEP_1) | instskip(NEXT) | instid1(VALU_DEP_1)
	v_add3_u32 v1, v7, v1, v3
	v_mad_u64_u32 v[2:3], null, v10, s48, v[0:1]
	v_mul_lo_u32 v0, v10, s49
	v_mul_lo_u32 v1, v11, s48
	s_delay_alu instid0(VALU_DEP_1) | instskip(NEXT) | instid1(VALU_DEP_1)
	v_add3_u32 v3, v1, v3, v0
	v_mad_u64_u32 v[0:1], null, v4, s50, v[2:3]
	v_mul_lo_u32 v2, v4, s51
	v_mul_lo_u32 v3, v5, s50
	s_delay_alu instid0(VALU_DEP_1) | instskip(SKIP_1) | instid1(VALU_DEP_1)
	v_add3_u32 v1, v3, v1, v2
	s_waitcnt lgkmcnt(0)
	v_mad_u64_u32 v[2:3], null, v8, s0, v[0:1]
	v_mul_lo_u32 v0, v8, s1
	v_mul_lo_u32 v1, v9, s0
	s_delay_alu instid0(VALU_DEP_1)
	v_add3_u32 v3, v1, v3, v0
	s_waitcnt vmcnt(0)
	v_lshlrev_b32_e32 v0, 16, v6
	global_store_b32 v[2:3], v0, off
.LBB28_26:
	s_nop 0
	s_sendmsg sendmsg(MSG_DEALLOC_VGPRS)
	s_endpgm
	.section	.rodata,"a",@progbits
	.p2align	6, 0x0
	.amdhsa_kernel _ZL10cpy_scalarIXadL_ZL12cpy_1_scalarI14__hip_bfloat16fEvPKcPcEEEvS3_S4_lllllllllllllll
		.amdhsa_group_segment_fixed_size 0
		.amdhsa_private_segment_fixed_size 0
		.amdhsa_kernarg_size 392
		.amdhsa_user_sgpr_count 15
		.amdhsa_user_sgpr_dispatch_ptr 0
		.amdhsa_user_sgpr_queue_ptr 0
		.amdhsa_user_sgpr_kernarg_segment_ptr 1
		.amdhsa_user_sgpr_dispatch_id 0
		.amdhsa_user_sgpr_private_segment_size 0
		.amdhsa_wavefront_size32 1
		.amdhsa_uses_dynamic_stack 0
		.amdhsa_enable_private_segment 0
		.amdhsa_system_sgpr_workgroup_id_x 1
		.amdhsa_system_sgpr_workgroup_id_y 0
		.amdhsa_system_sgpr_workgroup_id_z 0
		.amdhsa_system_sgpr_workgroup_info 0
		.amdhsa_system_vgpr_workitem_id 0
		.amdhsa_next_free_vgpr 25
		.amdhsa_next_free_sgpr 52
		.amdhsa_reserve_vcc 1
		.amdhsa_float_round_mode_32 0
		.amdhsa_float_round_mode_16_64 0
		.amdhsa_float_denorm_mode_32 3
		.amdhsa_float_denorm_mode_16_64 3
		.amdhsa_dx10_clamp 1
		.amdhsa_ieee_mode 1
		.amdhsa_fp16_overflow 0
		.amdhsa_workgroup_processor_mode 1
		.amdhsa_memory_ordered 1
		.amdhsa_forward_progress 0
		.amdhsa_shared_vgpr_count 0
		.amdhsa_exception_fp_ieee_invalid_op 0
		.amdhsa_exception_fp_denorm_src 0
		.amdhsa_exception_fp_ieee_div_zero 0
		.amdhsa_exception_fp_ieee_overflow 0
		.amdhsa_exception_fp_ieee_underflow 0
		.amdhsa_exception_fp_ieee_inexact 0
		.amdhsa_exception_int_div_zero 0
	.end_amdhsa_kernel
	.section	.text._ZL10cpy_scalarIXadL_ZL12cpy_1_scalarI14__hip_bfloat16fEvPKcPcEEEvS3_S4_lllllllllllllll,"axG",@progbits,_ZL10cpy_scalarIXadL_ZL12cpy_1_scalarI14__hip_bfloat16fEvPKcPcEEEvS3_S4_lllllllllllllll,comdat
.Lfunc_end28:
	.size	_ZL10cpy_scalarIXadL_ZL12cpy_1_scalarI14__hip_bfloat16fEvPKcPcEEEvS3_S4_lllllllllllllll, .Lfunc_end28-_ZL10cpy_scalarIXadL_ZL12cpy_1_scalarI14__hip_bfloat16fEvPKcPcEEEvS3_S4_lllllllllllllll
                                        ; -- End function
	.section	.AMDGPU.csdata,"",@progbits
; Kernel info:
; codeLenInByte = 6832
; NumSgprs: 54
; NumVgprs: 25
; ScratchSize: 0
; MemoryBound: 0
; FloatMode: 240
; IeeeMode: 1
; LDSByteSize: 0 bytes/workgroup (compile time only)
; SGPRBlocks: 6
; VGPRBlocks: 3
; NumSGPRsForWavesPerEU: 54
; NumVGPRsForWavesPerEU: 25
; Occupancy: 16
; WaveLimiterHint : 0
; COMPUTE_PGM_RSRC2:SCRATCH_EN: 0
; COMPUTE_PGM_RSRC2:USER_SGPR: 15
; COMPUTE_PGM_RSRC2:TRAP_HANDLER: 0
; COMPUTE_PGM_RSRC2:TGID_X_EN: 1
; COMPUTE_PGM_RSRC2:TGID_Y_EN: 0
; COMPUTE_PGM_RSRC2:TGID_Z_EN: 0
; COMPUTE_PGM_RSRC2:TIDIG_COMP_CNT: 0
	.section	.text._ZL20cpy_scalar_transposeIiEvPKcPclllllllllllllll,"axG",@progbits,_ZL20cpy_scalar_transposeIiEvPKcPclllllllllllllll,comdat
	.globl	_ZL20cpy_scalar_transposeIiEvPKcPclllllllllllllll ; -- Begin function _ZL20cpy_scalar_transposeIiEvPKcPclllllllllllllll
	.p2align	8
	.type	_ZL20cpy_scalar_transposeIiEvPKcPclllllllllllllll,@function
_ZL20cpy_scalar_transposeIiEvPKcPclllllllllllllll: ; @_ZL20cpy_scalar_transposeIiEvPKcPclllllllllllllll
; %bb.0:
	s_clause 0x1
	s_load_b256 s[4:11], s[0:1], 0x0
	s_load_b64 s[16:17], s[0:1], 0x20
	s_waitcnt lgkmcnt(0)
	s_mul_i32 s0, s16, s11
	s_mul_hi_u32 s1, s16, s10
	s_mul_i32 s2, s17, s10
	s_add_i32 s0, s1, s0
	s_mul_i32 s18, s16, s10
	s_add_i32 s19, s0, s2
	s_delay_alu instid0(SALU_CYCLE_1) | instskip(SKIP_1) | instid1(SALU_CYCLE_1)
	s_or_b64 s[2:3], s[8:9], s[18:19]
	s_mov_b32 s2, 0
	s_cmp_lg_u64 s[2:3], 0
	s_cbranch_scc0 .LBB29_162
; %bb.1:
	s_ashr_i32 s20, s19, 31
	s_delay_alu instid0(SALU_CYCLE_1) | instskip(SKIP_2) | instid1(SALU_CYCLE_1)
	s_add_u32 s0, s18, s20
	s_mov_b32 s21, s20
	s_addc_u32 s1, s19, s20
	s_xor_b64 s[0:1], s[0:1], s[20:21]
	s_delay_alu instid0(SALU_CYCLE_1) | instskip(SKIP_3) | instid1(VALU_DEP_1)
	v_cvt_f32_u32_e32 v1, s0
	v_cvt_f32_u32_e32 v2, s1
	s_sub_u32 s22, 0, s0
	s_subb_u32 s23, 0, s1
	v_fmamk_f32 v1, v2, 0x4f800000, v1
	s_delay_alu instid0(VALU_DEP_1) | instskip(SKIP_2) | instid1(VALU_DEP_1)
	v_rcp_f32_e32 v1, v1
	s_waitcnt_depctr 0xfff
	v_mul_f32_e32 v1, 0x5f7ffffc, v1
	v_mul_f32_e32 v2, 0x2f800000, v1
	s_delay_alu instid0(VALU_DEP_1) | instskip(NEXT) | instid1(VALU_DEP_1)
	v_trunc_f32_e32 v2, v2
	v_fmamk_f32 v1, v2, 0xcf800000, v1
	v_cvt_u32_f32_e32 v2, v2
	s_delay_alu instid0(VALU_DEP_2) | instskip(NEXT) | instid1(VALU_DEP_2)
	v_cvt_u32_f32_e32 v1, v1
	v_readfirstlane_b32 s3, v2
	s_delay_alu instid0(VALU_DEP_2) | instskip(NEXT) | instid1(VALU_DEP_2)
	v_readfirstlane_b32 s12, v1
	s_mul_i32 s24, s22, s3
	s_delay_alu instid0(VALU_DEP_1)
	s_mul_hi_u32 s26, s22, s12
	s_mul_i32 s25, s23, s12
	s_add_i32 s24, s26, s24
	s_mul_i32 s27, s22, s12
	s_add_i32 s24, s24, s25
	s_mul_hi_u32 s26, s12, s27
	s_mul_hi_u32 s28, s3, s27
	s_mul_i32 s25, s3, s27
	s_mul_hi_u32 s27, s12, s24
	s_mul_i32 s12, s12, s24
	s_mul_hi_u32 s29, s3, s24
	s_add_u32 s12, s26, s12
	s_addc_u32 s26, 0, s27
	s_add_u32 s12, s12, s25
	s_mul_i32 s24, s3, s24
	s_addc_u32 s12, s26, s28
	s_addc_u32 s25, s29, 0
	s_add_u32 s12, s12, s24
	s_addc_u32 s24, 0, s25
	v_add_co_u32 v1, s12, v1, s12
	s_delay_alu instid0(VALU_DEP_1) | instskip(SKIP_1) | instid1(VALU_DEP_1)
	s_cmp_lg_u32 s12, 0
	s_addc_u32 s3, s3, s24
	v_readfirstlane_b32 s12, v1
	s_mul_i32 s24, s22, s3
	s_delay_alu instid0(VALU_DEP_1)
	s_mul_hi_u32 s25, s22, s12
	s_mul_i32 s23, s23, s12
	s_add_i32 s24, s25, s24
	s_mul_i32 s22, s22, s12
	s_add_i32 s24, s24, s23
	s_mul_hi_u32 s25, s3, s22
	s_mul_i32 s26, s3, s22
	s_mul_hi_u32 s22, s12, s22
	s_mul_hi_u32 s27, s12, s24
	s_mul_i32 s12, s12, s24
	s_mul_hi_u32 s23, s3, s24
	s_add_u32 s12, s22, s12
	s_addc_u32 s22, 0, s27
	s_add_u32 s12, s12, s26
	s_mul_i32 s24, s3, s24
	s_addc_u32 s12, s22, s25
	s_addc_u32 s22, s23, 0
	s_add_u32 s12, s12, s24
	s_addc_u32 s22, 0, s22
	v_add_co_u32 v1, s12, v1, s12
	s_delay_alu instid0(VALU_DEP_1) | instskip(SKIP_2) | instid1(SALU_CYCLE_1)
	s_cmp_lg_u32 s12, 0
	s_addc_u32 s3, s3, s22
	s_ashr_i32 s22, s9, 31
	s_add_u32 s24, s8, s22
	s_addc_u32 s25, s9, s22
	v_readfirstlane_b32 s9, v1
	s_mov_b32 s23, s22
	s_delay_alu instid0(SALU_CYCLE_1) | instskip(NEXT) | instid1(SALU_CYCLE_1)
	s_xor_b64 s[24:25], s[24:25], s[22:23]
	s_mul_i32 s26, s24, s3
	s_delay_alu instid0(VALU_DEP_1)
	s_mul_hi_u32 s27, s24, s9
	s_mul_hi_u32 s12, s24, s3
	s_mul_hi_u32 s29, s25, s9
	s_mul_i32 s9, s25, s9
	s_add_u32 s26, s27, s26
	s_addc_u32 s12, 0, s12
	s_mul_hi_u32 s28, s25, s3
	s_add_u32 s9, s26, s9
	s_mul_i32 s3, s25, s3
	s_addc_u32 s9, s12, s29
	s_addc_u32 s12, s28, 0
	s_add_u32 s3, s9, s3
	s_addc_u32 s9, 0, s12
	s_mul_i32 s28, s0, s3
	s_mul_hi_u32 s12, s0, s3
	s_mul_i32 s27, s0, s9
	v_sub_co_u32 v1, s24, s24, s28
	s_mul_i32 s26, s1, s3
	s_add_i32 s12, s12, s27
	s_delay_alu instid0(SALU_CYCLE_1) | instskip(NEXT) | instid1(VALU_DEP_1)
	s_add_i32 s12, s12, s26
	v_sub_co_u32 v2, s27, v1, s0
	s_sub_i32 s26, s25, s12
	s_cmp_lg_u32 s24, 0
	s_subb_u32 s26, s26, s1
	s_cmp_lg_u32 s27, 0
	v_cmp_le_u32_e32 vcc_lo, s0, v2
	s_subb_u32 s26, s26, 0
	s_delay_alu instid0(SALU_CYCLE_1)
	s_cmp_ge_u32 s26, s1
	v_cndmask_b32_e64 v2, 0, -1, vcc_lo
	s_cselect_b32 s27, -1, 0
	s_cmp_eq_u32 s26, s1
	s_cselect_b32 vcc_lo, -1, 0
	s_add_u32 s26, s3, 1
	v_cndmask_b32_e32 v2, s27, v2, vcc_lo
	s_addc_u32 s27, s9, 0
	s_add_u32 s28, s3, 2
	s_addc_u32 s29, s9, 0
	v_mov_b32_e32 v3, s28
	s_cmp_lg_u32 s24, 0
	v_cmp_le_u32_e32 vcc_lo, s0, v1
	s_subb_u32 s0, s25, s12
	s_delay_alu instid0(SALU_CYCLE_1)
	s_cmp_ge_u32 s0, s1
	v_cndmask_b32_e64 v1, 0, -1, vcc_lo
	s_cselect_b32 s12, -1, 0
	s_cmp_eq_u32 s0, s1
	v_cmp_ne_u32_e32 vcc_lo, 0, v2
	s_cselect_b32 s0, -1, 0
	v_mov_b32_e32 v2, s29
	v_cndmask_b32_e64 v1, s12, v1, s0
	s_xor_b64 s[0:1], s[22:23], s[20:21]
	v_cndmask_b32_e32 v3, s26, v3, vcc_lo
	s_delay_alu instid0(VALU_DEP_3) | instskip(NEXT) | instid1(VALU_DEP_3)
	v_cndmask_b32_e32 v2, s27, v2, vcc_lo
	v_cmp_ne_u32_e32 vcc_lo, 0, v1
	s_delay_alu instid0(VALU_DEP_2) | instskip(NEXT) | instid1(VALU_DEP_4)
	v_cndmask_b32_e32 v1, s9, v2, vcc_lo
	v_cndmask_b32_e32 v2, s3, v3, vcc_lo
	s_delay_alu instid0(VALU_DEP_2) | instskip(NEXT) | instid1(VALU_DEP_2)
	v_xor_b32_e32 v1, s1, v1
	v_xor_b32_e32 v2, s0, v2
	s_delay_alu instid0(VALU_DEP_1) | instskip(NEXT) | instid1(VALU_DEP_3)
	v_sub_co_u32 v4, vcc_lo, v2, s0
	v_subrev_co_ci_u32_e32 v5, vcc_lo, s1, v1, vcc_lo
	s_and_not1_b32 vcc_lo, exec_lo, s2
	s_cbranch_vccnz .LBB29_3
.LBB29_2:
	v_cvt_f32_u32_e32 v1, s18
	s_sub_i32 s1, 0, s18
	s_delay_alu instid0(VALU_DEP_1) | instskip(SKIP_2) | instid1(VALU_DEP_1)
	v_rcp_iflag_f32_e32 v1, v1
	s_waitcnt_depctr 0xfff
	v_mul_f32_e32 v1, 0x4f7ffffe, v1
	v_cvt_u32_f32_e32 v1, v1
	s_delay_alu instid0(VALU_DEP_1) | instskip(NEXT) | instid1(VALU_DEP_1)
	v_readfirstlane_b32 s0, v1
	s_mul_i32 s1, s1, s0
	s_delay_alu instid0(SALU_CYCLE_1) | instskip(NEXT) | instid1(SALU_CYCLE_1)
	s_mul_hi_u32 s1, s0, s1
	s_add_i32 s0, s0, s1
	s_delay_alu instid0(SALU_CYCLE_1) | instskip(NEXT) | instid1(SALU_CYCLE_1)
	s_mul_hi_u32 s0, s8, s0
	s_mul_i32 s1, s0, s18
	s_add_i32 s2, s0, 1
	s_sub_i32 s1, s8, s1
	s_delay_alu instid0(SALU_CYCLE_1)
	s_sub_i32 s3, s1, s18
	s_cmp_ge_u32 s1, s18
	s_cselect_b32 s0, s2, s0
	s_cselect_b32 s1, s3, s1
	s_add_i32 s2, s0, 1
	s_cmp_ge_u32 s1, s18
	s_mov_b32 s1, 0
	s_cselect_b32 s0, s2, s0
	s_delay_alu instid0(SALU_CYCLE_1)
	v_dual_mov_b32 v5, s1 :: v_dual_mov_b32 v4, s0
.LBB29_3:
	v_and_b32_e32 v8, 0x3ff, v0
	s_lshl_b32 s0, s13, 5
	s_lshl_b32 s1, s14, 5
	v_bfe_u32 v13, v0, 10, 10
	s_lshl_b32 s8, s15, 3
	v_add_nc_u32_e32 v6, s0, v8
	v_add_nc_u32_e32 v10, s1, v8
	s_mov_b32 s9, 0
	v_add_nc_u32_e32 v2, s1, v13
	v_cmp_lt_i64_e64 s2, s[8:9], v[4:5]
	v_ashrrev_i32_e32 v7, 31, v6
	v_ashrrev_i32_e32 v11, 31, v10
	v_add_nc_u32_e32 v0, s0, v13
	v_lshlrev_b32_e32 v9, 2, v13
	v_lshlrev_b32_e32 v12, 2, v8
	v_lshlrev_b64 v[14:15], 2, v[6:7]
	v_cmp_gt_i64_e64 s1, s[16:17], v[6:7]
	v_lshlrev_b64 v[6:7], 2, v[10:11]
	v_cmp_le_i64_e64 s0, s[10:11], v[10:11]
	s_delay_alu instid0(VALU_DEP_4) | instskip(SKIP_1) | instid1(VALU_DEP_4)
	v_add_co_u32 v14, vcc_lo, s4, v14
	v_add_co_ci_u32_e32 v15, vcc_lo, s5, v15, vcc_lo
	v_add_co_u32 v10, vcc_lo, s6, v6
	v_add_co_ci_u32_e32 v11, vcc_lo, s7, v7, vcc_lo
	s_and_b32 vcc_lo, exec_lo, s2
	s_cbranch_vccz .LBB29_22
; %bb.4:
	s_mul_i32 s3, s19, s8
	s_mul_hi_u32 s4, s18, s8
	s_delay_alu instid0(SALU_CYCLE_1)
	s_add_i32 s5, s4, s3
	s_mul_i32 s4, s18, s8
	s_and_saveexec_b32 s3, s1
	s_cbranch_execz .LBB29_13
; %bb.5:
	s_lshl_b64 s[6:7], s[4:5], 2
	v_ashrrev_i32_e32 v3, 31, v2
	v_add_co_u32 v1, vcc_lo, v14, s6
	v_add_co_ci_u32_e32 v16, vcc_lo, s7, v15, vcc_lo
	v_mad_u32_u24 v17, 0x84, v13, v12
	s_mov_b32 s6, exec_lo
	v_cmpx_gt_i64_e64 s[10:11], v[2:3]
	s_cbranch_execz .LBB29_7
; %bb.6:
	v_mul_lo_u32 v3, v3, s16
	v_mul_lo_u32 v18, v2, s17
	v_mad_u64_u32 v[6:7], null, v2, s16, 0
	s_delay_alu instid0(VALU_DEP_1) | instskip(NEXT) | instid1(VALU_DEP_1)
	v_add3_u32 v7, v7, v18, v3
	v_lshlrev_b64 v[6:7], 2, v[6:7]
	s_delay_alu instid0(VALU_DEP_1) | instskip(NEXT) | instid1(VALU_DEP_2)
	v_add_co_u32 v6, vcc_lo, v1, v6
	v_add_co_ci_u32_e32 v7, vcc_lo, v16, v7, vcc_lo
	global_load_b32 v3, v[6:7], off
	s_waitcnt vmcnt(0)
	ds_store_b32 v17, v3
.LBB29_7:
	s_or_b32 exec_lo, exec_lo, s6
	v_add_nc_u32_e32 v6, 8, v2
	s_mov_b32 s6, exec_lo
	s_delay_alu instid0(VALU_DEP_1) | instskip(NEXT) | instid1(VALU_DEP_1)
	v_ashrrev_i32_e32 v7, 31, v6
	v_cmpx_gt_i64_e64 s[10:11], v[6:7]
	s_cbranch_execz .LBB29_9
; %bb.8:
	v_mul_lo_u32 v3, v7, s16
	v_mul_lo_u32 v7, v6, s17
	v_mad_u64_u32 v[18:19], null, v6, s16, 0
	s_delay_alu instid0(VALU_DEP_1) | instskip(NEXT) | instid1(VALU_DEP_1)
	v_add3_u32 v19, v19, v7, v3
	v_lshlrev_b64 v[6:7], 2, v[18:19]
	s_delay_alu instid0(VALU_DEP_1) | instskip(NEXT) | instid1(VALU_DEP_2)
	v_add_co_u32 v6, vcc_lo, v1, v6
	v_add_co_ci_u32_e32 v7, vcc_lo, v16, v7, vcc_lo
	global_load_b32 v3, v[6:7], off
	s_waitcnt vmcnt(0)
	ds_store_b32 v17, v3 offset:1056
.LBB29_9:
	s_or_b32 exec_lo, exec_lo, s6
	v_add_nc_u32_e32 v6, 16, v2
	s_mov_b32 s6, exec_lo
	s_delay_alu instid0(VALU_DEP_1) | instskip(NEXT) | instid1(VALU_DEP_1)
	v_ashrrev_i32_e32 v7, 31, v6
	v_cmpx_gt_i64_e64 s[10:11], v[6:7]
	s_cbranch_execz .LBB29_11
; %bb.10:
	v_mul_lo_u32 v3, v7, s16
	v_mul_lo_u32 v7, v6, s17
	v_mad_u64_u32 v[18:19], null, v6, s16, 0
	s_delay_alu instid0(VALU_DEP_1) | instskip(NEXT) | instid1(VALU_DEP_1)
	v_add3_u32 v19, v19, v7, v3
	v_lshlrev_b64 v[6:7], 2, v[18:19]
	s_delay_alu instid0(VALU_DEP_1) | instskip(NEXT) | instid1(VALU_DEP_2)
	v_add_co_u32 v6, vcc_lo, v1, v6
	v_add_co_ci_u32_e32 v7, vcc_lo, v16, v7, vcc_lo
	global_load_b32 v3, v[6:7], off
	s_waitcnt vmcnt(0)
	ds_store_b32 v17, v3 offset:2112
.LBB29_11:
	s_or_b32 exec_lo, exec_lo, s6
	v_add_nc_u32_e32 v6, 24, v2
	s_delay_alu instid0(VALU_DEP_1) | instskip(NEXT) | instid1(VALU_DEP_1)
	v_ashrrev_i32_e32 v7, 31, v6
	v_cmp_gt_i64_e32 vcc_lo, s[10:11], v[6:7]
	s_and_b32 exec_lo, exec_lo, vcc_lo
	s_cbranch_execz .LBB29_13
; %bb.12:
	v_mul_lo_u32 v3, v7, s16
	v_mul_lo_u32 v7, v6, s17
	v_mad_u64_u32 v[18:19], null, v6, s16, 0
	s_delay_alu instid0(VALU_DEP_1) | instskip(NEXT) | instid1(VALU_DEP_1)
	v_add3_u32 v19, v19, v7, v3
	v_lshlrev_b64 v[6:7], 2, v[18:19]
	s_delay_alu instid0(VALU_DEP_1) | instskip(NEXT) | instid1(VALU_DEP_2)
	v_add_co_u32 v6, vcc_lo, v1, v6
	v_add_co_ci_u32_e32 v7, vcc_lo, v16, v7, vcc_lo
	global_load_b32 v1, v[6:7], off
	s_waitcnt vmcnt(0)
	ds_store_b32 v17, v1 offset:3168
.LBB29_13:
	s_or_b32 exec_lo, exec_lo, s3
	v_ashrrev_i32_e32 v1, 31, v0
	s_lshl_b64 s[4:5], s[4:5], 2
	v_mad_u32_u24 v3, 0x84, v8, v9
	v_add_co_u32 v16, s3, v10, s4
	s_delay_alu instid0(VALU_DEP_3)
	v_cmp_gt_i64_e32 vcc_lo, s[16:17], v[0:1]
	v_add_co_ci_u32_e64 v17, s3, s5, v11, s3
	s_xor_b32 s3, s0, -1
	s_waitcnt lgkmcnt(0)
	s_barrier
	s_and_b32 s5, vcc_lo, s3
	buffer_gl0_inv
	s_and_saveexec_b32 s4, s5
	s_cbranch_execz .LBB29_15
; %bb.14:
	v_mul_lo_u32 v1, v1, s10
	v_mul_lo_u32 v18, v0, s11
	v_mad_u64_u32 v[6:7], null, v0, s10, 0
	ds_load_b32 v19, v3
	v_add3_u32 v7, v7, v18, v1
	s_delay_alu instid0(VALU_DEP_1) | instskip(NEXT) | instid1(VALU_DEP_1)
	v_lshlrev_b64 v[6:7], 2, v[6:7]
	v_add_co_u32 v6, vcc_lo, v16, v6
	s_delay_alu instid0(VALU_DEP_2)
	v_add_co_ci_u32_e32 v7, vcc_lo, v17, v7, vcc_lo
	s_waitcnt lgkmcnt(0)
	global_store_b32 v[6:7], v19, off
.LBB29_15:
	s_or_b32 exec_lo, exec_lo, s4
	v_add_nc_u32_e32 v6, 8, v0
	s_delay_alu instid0(VALU_DEP_1) | instskip(NEXT) | instid1(VALU_DEP_1)
	v_ashrrev_i32_e32 v7, 31, v6
	v_cmp_gt_i64_e32 vcc_lo, s[16:17], v[6:7]
	s_and_b32 s5, vcc_lo, s3
	s_delay_alu instid0(SALU_CYCLE_1)
	s_and_saveexec_b32 s4, s5
	s_cbranch_execz .LBB29_17
; %bb.16:
	v_mul_lo_u32 v1, v7, s10
	v_mul_lo_u32 v7, v6, s11
	v_mad_u64_u32 v[18:19], null, v6, s10, 0
	ds_load_b32 v20, v3 offset:32
	v_add3_u32 v19, v19, v7, v1
	s_delay_alu instid0(VALU_DEP_1) | instskip(NEXT) | instid1(VALU_DEP_1)
	v_lshlrev_b64 v[6:7], 2, v[18:19]
	v_add_co_u32 v6, vcc_lo, v16, v6
	s_delay_alu instid0(VALU_DEP_2)
	v_add_co_ci_u32_e32 v7, vcc_lo, v17, v7, vcc_lo
	s_waitcnt lgkmcnt(0)
	global_store_b32 v[6:7], v20, off
.LBB29_17:
	s_or_b32 exec_lo, exec_lo, s4
	v_add_nc_u32_e32 v6, 16, v0
	s_delay_alu instid0(VALU_DEP_1) | instskip(NEXT) | instid1(VALU_DEP_1)
	v_ashrrev_i32_e32 v7, 31, v6
	v_cmp_gt_i64_e32 vcc_lo, s[16:17], v[6:7]
	s_and_b32 s5, vcc_lo, s3
	s_delay_alu instid0(SALU_CYCLE_1)
	s_and_saveexec_b32 s4, s5
	s_cbranch_execz .LBB29_19
; %bb.18:
	v_mul_lo_u32 v1, v7, s10
	v_mul_lo_u32 v7, v6, s11
	v_mad_u64_u32 v[18:19], null, v6, s10, 0
	ds_load_b32 v20, v3 offset:64
	v_add3_u32 v19, v19, v7, v1
	s_delay_alu instid0(VALU_DEP_1) | instskip(NEXT) | instid1(VALU_DEP_1)
	v_lshlrev_b64 v[6:7], 2, v[18:19]
	v_add_co_u32 v6, vcc_lo, v16, v6
	s_delay_alu instid0(VALU_DEP_2)
	v_add_co_ci_u32_e32 v7, vcc_lo, v17, v7, vcc_lo
	s_waitcnt lgkmcnt(0)
	global_store_b32 v[6:7], v20, off
.LBB29_19:
	;; [unrolled: 23-line block ×3, first 2 shown]
	s_or_b32 exec_lo, exec_lo, s3
	s_mov_b32 s9, 1
.LBB29_22:
	s_and_b32 vcc_lo, exec_lo, s2
	s_cbranch_vccz .LBB29_161
; %bb.23:
	s_or_b32 s4, s8, 1
	s_mov_b32 s5, 0
	s_delay_alu instid0(SALU_CYCLE_1)
	v_cmp_ge_u64_e32 vcc_lo, s[4:5], v[4:5]
	v_cmp_lt_u64_e64 s2, s[4:5], v[4:5]
	s_cbranch_vccnz .LBB29_42
; %bb.24:
	s_mul_i32 s3, s19, s4
	s_mul_hi_u32 s5, s18, s4
	s_mul_i32 s4, s18, s4
	s_add_i32 s5, s5, s3
	s_mul_i32 s6, s9, 0x1080
	s_and_saveexec_b32 s7, s1
	s_cbranch_execz .LBB29_33
; %bb.25:
	s_lshl_b64 s[12:13], s[4:5], 2
	v_ashrrev_i32_e32 v3, 31, v2
	v_add_co_u32 v1, s3, v14, s12
	s_delay_alu instid0(VALU_DEP_1) | instskip(SKIP_1) | instid1(VALU_DEP_3)
	v_add_co_ci_u32_e64 v16, s3, s13, v15, s3
	s_mov_b32 s3, exec_lo
	v_cmpx_gt_i64_e64 s[10:11], v[2:3]
	s_cbranch_execz .LBB29_27
; %bb.26:
	v_mul_lo_u32 v3, v3, s16
	v_mul_lo_u32 v17, v2, s17
	v_mad_u64_u32 v[6:7], null, v2, s16, 0
	s_delay_alu instid0(VALU_DEP_1) | instskip(NEXT) | instid1(VALU_DEP_1)
	v_add3_u32 v7, v7, v17, v3
	v_lshlrev_b64 v[6:7], 2, v[6:7]
	s_delay_alu instid0(VALU_DEP_1) | instskip(NEXT) | instid1(VALU_DEP_2)
	v_add_co_u32 v6, vcc_lo, v1, v6
	v_add_co_ci_u32_e32 v7, vcc_lo, v16, v7, vcc_lo
	global_load_b32 v3, v[6:7], off
	v_mul_u32_u24_e32 v6, 0x84, v13
	s_delay_alu instid0(VALU_DEP_1)
	v_add3_u32 v6, v12, s6, v6
	s_waitcnt vmcnt(0)
	ds_store_b32 v6, v3
.LBB29_27:
	s_or_b32 exec_lo, exec_lo, s3
	v_add_nc_u32_e32 v6, 8, v2
	s_mov_b32 s3, exec_lo
	s_delay_alu instid0(VALU_DEP_1) | instskip(NEXT) | instid1(VALU_DEP_1)
	v_ashrrev_i32_e32 v7, 31, v6
	v_cmpx_gt_i64_e64 s[10:11], v[6:7]
	s_cbranch_execz .LBB29_29
; %bb.28:
	v_mul_lo_u32 v3, v7, s16
	v_mul_lo_u32 v7, v6, s17
	v_mad_u64_u32 v[17:18], null, v6, s16, 0
	s_delay_alu instid0(VALU_DEP_1) | instskip(NEXT) | instid1(VALU_DEP_1)
	v_add3_u32 v18, v18, v7, v3
	v_lshlrev_b64 v[6:7], 2, v[17:18]
	s_delay_alu instid0(VALU_DEP_1) | instskip(NEXT) | instid1(VALU_DEP_2)
	v_add_co_u32 v6, vcc_lo, v1, v6
	v_add_co_ci_u32_e32 v7, vcc_lo, v16, v7, vcc_lo
	global_load_b32 v3, v[6:7], off
	v_mul_u32_u24_e32 v6, 0x84, v13
	s_delay_alu instid0(VALU_DEP_1)
	v_add3_u32 v6, v12, s6, v6
	s_waitcnt vmcnt(0)
	ds_store_b32 v6, v3 offset:1056
.LBB29_29:
	s_or_b32 exec_lo, exec_lo, s3
	v_add_nc_u32_e32 v6, 16, v2
	s_mov_b32 s3, exec_lo
	s_delay_alu instid0(VALU_DEP_1) | instskip(NEXT) | instid1(VALU_DEP_1)
	v_ashrrev_i32_e32 v7, 31, v6
	v_cmpx_gt_i64_e64 s[10:11], v[6:7]
	s_cbranch_execz .LBB29_31
; %bb.30:
	v_mul_lo_u32 v3, v7, s16
	v_mul_lo_u32 v7, v6, s17
	v_mad_u64_u32 v[17:18], null, v6, s16, 0
	s_delay_alu instid0(VALU_DEP_1) | instskip(NEXT) | instid1(VALU_DEP_1)
	v_add3_u32 v18, v18, v7, v3
	v_lshlrev_b64 v[6:7], 2, v[17:18]
	s_delay_alu instid0(VALU_DEP_1) | instskip(NEXT) | instid1(VALU_DEP_2)
	v_add_co_u32 v6, vcc_lo, v1, v6
	v_add_co_ci_u32_e32 v7, vcc_lo, v16, v7, vcc_lo
	global_load_b32 v3, v[6:7], off
	v_mul_u32_u24_e32 v6, 0x84, v13
	s_delay_alu instid0(VALU_DEP_1)
	v_add3_u32 v6, v12, s6, v6
	s_waitcnt vmcnt(0)
	ds_store_b32 v6, v3 offset:2112
.LBB29_31:
	s_or_b32 exec_lo, exec_lo, s3
	v_add_nc_u32_e32 v6, 24, v2
	s_delay_alu instid0(VALU_DEP_1) | instskip(NEXT) | instid1(VALU_DEP_1)
	v_ashrrev_i32_e32 v7, 31, v6
	v_cmp_gt_i64_e32 vcc_lo, s[10:11], v[6:7]
	s_and_b32 exec_lo, exec_lo, vcc_lo
	s_cbranch_execz .LBB29_33
; %bb.32:
	v_mul_lo_u32 v3, v7, s16
	v_mul_lo_u32 v7, v6, s17
	v_mad_u64_u32 v[17:18], null, v6, s16, 0
	s_delay_alu instid0(VALU_DEP_1) | instskip(SKIP_1) | instid1(VALU_DEP_2)
	v_add3_u32 v18, v18, v7, v3
	v_mul_u32_u24_e32 v3, 0x84, v13
	v_lshlrev_b64 v[6:7], 2, v[17:18]
	s_delay_alu instid0(VALU_DEP_2) | instskip(NEXT) | instid1(VALU_DEP_2)
	v_add3_u32 v3, v12, s6, v3
	v_add_co_u32 v6, vcc_lo, v1, v6
	s_delay_alu instid0(VALU_DEP_3)
	v_add_co_ci_u32_e32 v7, vcc_lo, v16, v7, vcc_lo
	global_load_b32 v1, v[6:7], off
	s_waitcnt vmcnt(0)
	ds_store_b32 v3, v1 offset:3168
.LBB29_33:
	s_or_b32 exec_lo, exec_lo, s7
	v_ashrrev_i32_e32 v1, 31, v0
	v_mul_u32_u24_e32 v3, 0x84, v8
	s_lshl_b64 s[4:5], s[4:5], 2
	s_waitcnt lgkmcnt(0)
	s_waitcnt_vscnt null, 0x0
	s_barrier
	v_cmp_gt_i64_e32 vcc_lo, s[16:17], v[0:1]
	v_add3_u32 v17, v9, s6, v3
	v_add_co_u32 v3, s3, v10, s4
	s_delay_alu instid0(VALU_DEP_1) | instskip(SKIP_3) | instid1(SALU_CYCLE_1)
	v_add_co_ci_u32_e64 v16, s3, s5, v11, s3
	s_xor_b32 s3, s0, -1
	buffer_gl0_inv
	s_and_b32 s5, vcc_lo, s3
	s_and_saveexec_b32 s4, s5
	s_cbranch_execz .LBB29_35
; %bb.34:
	v_mul_lo_u32 v1, v1, s10
	v_mul_lo_u32 v18, v0, s11
	v_mad_u64_u32 v[6:7], null, v0, s10, 0
	ds_load_b32 v19, v17
	v_add3_u32 v7, v7, v18, v1
	s_delay_alu instid0(VALU_DEP_1) | instskip(NEXT) | instid1(VALU_DEP_1)
	v_lshlrev_b64 v[6:7], 2, v[6:7]
	v_add_co_u32 v6, vcc_lo, v3, v6
	s_delay_alu instid0(VALU_DEP_2)
	v_add_co_ci_u32_e32 v7, vcc_lo, v16, v7, vcc_lo
	s_waitcnt lgkmcnt(0)
	global_store_b32 v[6:7], v19, off
.LBB29_35:
	s_or_b32 exec_lo, exec_lo, s4
	v_add_nc_u32_e32 v6, 8, v0
	s_delay_alu instid0(VALU_DEP_1) | instskip(NEXT) | instid1(VALU_DEP_1)
	v_ashrrev_i32_e32 v7, 31, v6
	v_cmp_gt_i64_e32 vcc_lo, s[16:17], v[6:7]
	s_and_b32 s5, vcc_lo, s3
	s_delay_alu instid0(SALU_CYCLE_1)
	s_and_saveexec_b32 s4, s5
	s_cbranch_execz .LBB29_37
; %bb.36:
	v_mul_lo_u32 v1, v7, s10
	v_mul_lo_u32 v7, v6, s11
	v_mad_u64_u32 v[18:19], null, v6, s10, 0
	ds_load_b32 v20, v17 offset:32
	v_add3_u32 v19, v19, v7, v1
	s_delay_alu instid0(VALU_DEP_1) | instskip(NEXT) | instid1(VALU_DEP_1)
	v_lshlrev_b64 v[6:7], 2, v[18:19]
	v_add_co_u32 v6, vcc_lo, v3, v6
	s_delay_alu instid0(VALU_DEP_2)
	v_add_co_ci_u32_e32 v7, vcc_lo, v16, v7, vcc_lo
	s_waitcnt lgkmcnt(0)
	global_store_b32 v[6:7], v20, off
.LBB29_37:
	s_or_b32 exec_lo, exec_lo, s4
	v_add_nc_u32_e32 v6, 16, v0
	s_delay_alu instid0(VALU_DEP_1) | instskip(NEXT) | instid1(VALU_DEP_1)
	v_ashrrev_i32_e32 v7, 31, v6
	v_cmp_gt_i64_e32 vcc_lo, s[16:17], v[6:7]
	s_and_b32 s5, vcc_lo, s3
	s_delay_alu instid0(SALU_CYCLE_1)
	s_and_saveexec_b32 s4, s5
	s_cbranch_execz .LBB29_39
; %bb.38:
	v_mul_lo_u32 v1, v7, s10
	v_mul_lo_u32 v7, v6, s11
	v_mad_u64_u32 v[18:19], null, v6, s10, 0
	ds_load_b32 v20, v17 offset:64
	v_add3_u32 v19, v19, v7, v1
	s_delay_alu instid0(VALU_DEP_1) | instskip(NEXT) | instid1(VALU_DEP_1)
	v_lshlrev_b64 v[6:7], 2, v[18:19]
	v_add_co_u32 v6, vcc_lo, v3, v6
	s_delay_alu instid0(VALU_DEP_2)
	v_add_co_ci_u32_e32 v7, vcc_lo, v16, v7, vcc_lo
	s_waitcnt lgkmcnt(0)
	global_store_b32 v[6:7], v20, off
.LBB29_39:
	s_or_b32 exec_lo, exec_lo, s4
	v_add_nc_u32_e32 v6, 24, v0
	s_delay_alu instid0(VALU_DEP_1) | instskip(NEXT) | instid1(VALU_DEP_1)
	v_ashrrev_i32_e32 v7, 31, v6
	v_cmp_gt_i64_e32 vcc_lo, s[16:17], v[6:7]
	s_and_b32 s4, vcc_lo, s3
	s_delay_alu instid0(SALU_CYCLE_1)
	s_and_saveexec_b32 s3, s4
	s_cbranch_execz .LBB29_41
; %bb.40:
	v_mul_lo_u32 v1, v7, s10
	v_mul_lo_u32 v7, v6, s11
	v_mad_u64_u32 v[18:19], null, v6, s10, 0
	ds_load_b32 v17, v17 offset:96
	v_add3_u32 v19, v19, v7, v1
	s_delay_alu instid0(VALU_DEP_1) | instskip(NEXT) | instid1(VALU_DEP_1)
	v_lshlrev_b64 v[6:7], 2, v[18:19]
	v_add_co_u32 v6, vcc_lo, v3, v6
	s_delay_alu instid0(VALU_DEP_2)
	v_add_co_ci_u32_e32 v7, vcc_lo, v16, v7, vcc_lo
	s_waitcnt lgkmcnt(0)
	global_store_b32 v[6:7], v17, off
.LBB29_41:
	s_or_b32 exec_lo, exec_lo, s3
	s_xor_b32 s9, s9, 1
.LBB29_42:
	s_delay_alu instid0(VALU_DEP_1)
	s_and_not1_b32 vcc_lo, exec_lo, s2
	s_cbranch_vccnz .LBB29_161
; %bb.43:
	s_or_b32 s4, s8, 2
	s_mov_b32 s5, 0
	s_delay_alu instid0(SALU_CYCLE_1)
	v_cmp_ge_u64_e32 vcc_lo, s[4:5], v[4:5]
	v_cmp_lt_u64_e64 s2, s[4:5], v[4:5]
	s_cbranch_vccnz .LBB29_62
; %bb.44:
	s_mul_i32 s3, s19, s4
	s_mul_hi_u32 s5, s18, s4
	s_mul_i32 s4, s18, s4
	s_add_i32 s5, s5, s3
	s_mul_i32 s6, s9, 0x1080
	s_and_saveexec_b32 s7, s1
	s_cbranch_execz .LBB29_53
; %bb.45:
	s_lshl_b64 s[12:13], s[4:5], 2
	v_ashrrev_i32_e32 v3, 31, v2
	v_add_co_u32 v1, s3, v14, s12
	s_delay_alu instid0(VALU_DEP_1) | instskip(SKIP_1) | instid1(VALU_DEP_3)
	v_add_co_ci_u32_e64 v16, s3, s13, v15, s3
	s_mov_b32 s3, exec_lo
	v_cmpx_gt_i64_e64 s[10:11], v[2:3]
	s_cbranch_execz .LBB29_47
; %bb.46:
	v_mul_lo_u32 v3, v3, s16
	v_mul_lo_u32 v17, v2, s17
	v_mad_u64_u32 v[6:7], null, v2, s16, 0
	s_delay_alu instid0(VALU_DEP_1) | instskip(NEXT) | instid1(VALU_DEP_1)
	v_add3_u32 v7, v7, v17, v3
	v_lshlrev_b64 v[6:7], 2, v[6:7]
	s_delay_alu instid0(VALU_DEP_1) | instskip(NEXT) | instid1(VALU_DEP_2)
	v_add_co_u32 v6, vcc_lo, v1, v6
	v_add_co_ci_u32_e32 v7, vcc_lo, v16, v7, vcc_lo
	global_load_b32 v3, v[6:7], off
	v_mul_u32_u24_e32 v6, 0x84, v13
	s_delay_alu instid0(VALU_DEP_1)
	v_add3_u32 v6, v12, s6, v6
	s_waitcnt vmcnt(0)
	ds_store_b32 v6, v3
.LBB29_47:
	s_or_b32 exec_lo, exec_lo, s3
	v_add_nc_u32_e32 v6, 8, v2
	s_mov_b32 s3, exec_lo
	s_delay_alu instid0(VALU_DEP_1) | instskip(NEXT) | instid1(VALU_DEP_1)
	v_ashrrev_i32_e32 v7, 31, v6
	v_cmpx_gt_i64_e64 s[10:11], v[6:7]
	s_cbranch_execz .LBB29_49
; %bb.48:
	v_mul_lo_u32 v3, v7, s16
	v_mul_lo_u32 v7, v6, s17
	v_mad_u64_u32 v[17:18], null, v6, s16, 0
	s_delay_alu instid0(VALU_DEP_1) | instskip(NEXT) | instid1(VALU_DEP_1)
	v_add3_u32 v18, v18, v7, v3
	v_lshlrev_b64 v[6:7], 2, v[17:18]
	s_delay_alu instid0(VALU_DEP_1) | instskip(NEXT) | instid1(VALU_DEP_2)
	v_add_co_u32 v6, vcc_lo, v1, v6
	v_add_co_ci_u32_e32 v7, vcc_lo, v16, v7, vcc_lo
	global_load_b32 v3, v[6:7], off
	v_mul_u32_u24_e32 v6, 0x84, v13
	s_delay_alu instid0(VALU_DEP_1)
	v_add3_u32 v6, v12, s6, v6
	s_waitcnt vmcnt(0)
	ds_store_b32 v6, v3 offset:1056
.LBB29_49:
	s_or_b32 exec_lo, exec_lo, s3
	v_add_nc_u32_e32 v6, 16, v2
	s_mov_b32 s3, exec_lo
	s_delay_alu instid0(VALU_DEP_1) | instskip(NEXT) | instid1(VALU_DEP_1)
	v_ashrrev_i32_e32 v7, 31, v6
	v_cmpx_gt_i64_e64 s[10:11], v[6:7]
	s_cbranch_execz .LBB29_51
; %bb.50:
	v_mul_lo_u32 v3, v7, s16
	v_mul_lo_u32 v7, v6, s17
	v_mad_u64_u32 v[17:18], null, v6, s16, 0
	s_delay_alu instid0(VALU_DEP_1) | instskip(NEXT) | instid1(VALU_DEP_1)
	v_add3_u32 v18, v18, v7, v3
	v_lshlrev_b64 v[6:7], 2, v[17:18]
	s_delay_alu instid0(VALU_DEP_1) | instskip(NEXT) | instid1(VALU_DEP_2)
	v_add_co_u32 v6, vcc_lo, v1, v6
	v_add_co_ci_u32_e32 v7, vcc_lo, v16, v7, vcc_lo
	global_load_b32 v3, v[6:7], off
	v_mul_u32_u24_e32 v6, 0x84, v13
	s_delay_alu instid0(VALU_DEP_1)
	v_add3_u32 v6, v12, s6, v6
	s_waitcnt vmcnt(0)
	ds_store_b32 v6, v3 offset:2112
.LBB29_51:
	s_or_b32 exec_lo, exec_lo, s3
	v_add_nc_u32_e32 v6, 24, v2
	s_delay_alu instid0(VALU_DEP_1) | instskip(NEXT) | instid1(VALU_DEP_1)
	v_ashrrev_i32_e32 v7, 31, v6
	v_cmp_gt_i64_e32 vcc_lo, s[10:11], v[6:7]
	s_and_b32 exec_lo, exec_lo, vcc_lo
	s_cbranch_execz .LBB29_53
; %bb.52:
	v_mul_lo_u32 v3, v7, s16
	v_mul_lo_u32 v7, v6, s17
	v_mad_u64_u32 v[17:18], null, v6, s16, 0
	s_delay_alu instid0(VALU_DEP_1) | instskip(SKIP_1) | instid1(VALU_DEP_2)
	v_add3_u32 v18, v18, v7, v3
	v_mul_u32_u24_e32 v3, 0x84, v13
	v_lshlrev_b64 v[6:7], 2, v[17:18]
	s_delay_alu instid0(VALU_DEP_2) | instskip(NEXT) | instid1(VALU_DEP_2)
	v_add3_u32 v3, v12, s6, v3
	v_add_co_u32 v6, vcc_lo, v1, v6
	s_delay_alu instid0(VALU_DEP_3)
	v_add_co_ci_u32_e32 v7, vcc_lo, v16, v7, vcc_lo
	global_load_b32 v1, v[6:7], off
	s_waitcnt vmcnt(0)
	ds_store_b32 v3, v1 offset:3168
.LBB29_53:
	s_or_b32 exec_lo, exec_lo, s7
	v_ashrrev_i32_e32 v1, 31, v0
	v_mul_u32_u24_e32 v3, 0x84, v8
	s_lshl_b64 s[4:5], s[4:5], 2
	s_waitcnt lgkmcnt(0)
	s_waitcnt_vscnt null, 0x0
	s_barrier
	v_cmp_gt_i64_e32 vcc_lo, s[16:17], v[0:1]
	v_add3_u32 v17, v9, s6, v3
	v_add_co_u32 v3, s3, v10, s4
	s_delay_alu instid0(VALU_DEP_1) | instskip(SKIP_3) | instid1(SALU_CYCLE_1)
	v_add_co_ci_u32_e64 v16, s3, s5, v11, s3
	s_xor_b32 s3, s0, -1
	buffer_gl0_inv
	s_and_b32 s5, vcc_lo, s3
	s_and_saveexec_b32 s4, s5
	s_cbranch_execz .LBB29_55
; %bb.54:
	v_mul_lo_u32 v1, v1, s10
	v_mul_lo_u32 v18, v0, s11
	v_mad_u64_u32 v[6:7], null, v0, s10, 0
	ds_load_b32 v19, v17
	v_add3_u32 v7, v7, v18, v1
	s_delay_alu instid0(VALU_DEP_1) | instskip(NEXT) | instid1(VALU_DEP_1)
	v_lshlrev_b64 v[6:7], 2, v[6:7]
	v_add_co_u32 v6, vcc_lo, v3, v6
	s_delay_alu instid0(VALU_DEP_2)
	v_add_co_ci_u32_e32 v7, vcc_lo, v16, v7, vcc_lo
	s_waitcnt lgkmcnt(0)
	global_store_b32 v[6:7], v19, off
.LBB29_55:
	s_or_b32 exec_lo, exec_lo, s4
	v_add_nc_u32_e32 v6, 8, v0
	s_delay_alu instid0(VALU_DEP_1) | instskip(NEXT) | instid1(VALU_DEP_1)
	v_ashrrev_i32_e32 v7, 31, v6
	v_cmp_gt_i64_e32 vcc_lo, s[16:17], v[6:7]
	s_and_b32 s5, vcc_lo, s3
	s_delay_alu instid0(SALU_CYCLE_1)
	s_and_saveexec_b32 s4, s5
	s_cbranch_execz .LBB29_57
; %bb.56:
	v_mul_lo_u32 v1, v7, s10
	v_mul_lo_u32 v7, v6, s11
	v_mad_u64_u32 v[18:19], null, v6, s10, 0
	ds_load_b32 v20, v17 offset:32
	v_add3_u32 v19, v19, v7, v1
	s_delay_alu instid0(VALU_DEP_1) | instskip(NEXT) | instid1(VALU_DEP_1)
	v_lshlrev_b64 v[6:7], 2, v[18:19]
	v_add_co_u32 v6, vcc_lo, v3, v6
	s_delay_alu instid0(VALU_DEP_2)
	v_add_co_ci_u32_e32 v7, vcc_lo, v16, v7, vcc_lo
	s_waitcnt lgkmcnt(0)
	global_store_b32 v[6:7], v20, off
.LBB29_57:
	s_or_b32 exec_lo, exec_lo, s4
	v_add_nc_u32_e32 v6, 16, v0
	s_delay_alu instid0(VALU_DEP_1) | instskip(NEXT) | instid1(VALU_DEP_1)
	v_ashrrev_i32_e32 v7, 31, v6
	v_cmp_gt_i64_e32 vcc_lo, s[16:17], v[6:7]
	s_and_b32 s5, vcc_lo, s3
	s_delay_alu instid0(SALU_CYCLE_1)
	s_and_saveexec_b32 s4, s5
	s_cbranch_execz .LBB29_59
; %bb.58:
	v_mul_lo_u32 v1, v7, s10
	v_mul_lo_u32 v7, v6, s11
	v_mad_u64_u32 v[18:19], null, v6, s10, 0
	ds_load_b32 v20, v17 offset:64
	v_add3_u32 v19, v19, v7, v1
	s_delay_alu instid0(VALU_DEP_1) | instskip(NEXT) | instid1(VALU_DEP_1)
	v_lshlrev_b64 v[6:7], 2, v[18:19]
	v_add_co_u32 v6, vcc_lo, v3, v6
	s_delay_alu instid0(VALU_DEP_2)
	v_add_co_ci_u32_e32 v7, vcc_lo, v16, v7, vcc_lo
	s_waitcnt lgkmcnt(0)
	global_store_b32 v[6:7], v20, off
.LBB29_59:
	;; [unrolled: 23-line block ×3, first 2 shown]
	s_or_b32 exec_lo, exec_lo, s3
	s_xor_b32 s9, s9, 1
.LBB29_62:
	s_delay_alu instid0(VALU_DEP_1)
	s_and_not1_b32 vcc_lo, exec_lo, s2
	s_cbranch_vccnz .LBB29_161
; %bb.63:
	s_or_b32 s4, s8, 3
	s_mov_b32 s5, 0
	s_delay_alu instid0(SALU_CYCLE_1)
	v_cmp_ge_u64_e32 vcc_lo, s[4:5], v[4:5]
	v_cmp_lt_u64_e64 s2, s[4:5], v[4:5]
	s_cbranch_vccnz .LBB29_82
; %bb.64:
	s_mul_i32 s3, s19, s4
	s_mul_hi_u32 s5, s18, s4
	s_mul_i32 s4, s18, s4
	s_add_i32 s5, s5, s3
	s_mul_i32 s6, s9, 0x1080
	s_and_saveexec_b32 s7, s1
	s_cbranch_execz .LBB29_73
; %bb.65:
	s_lshl_b64 s[12:13], s[4:5], 2
	v_ashrrev_i32_e32 v3, 31, v2
	v_add_co_u32 v1, s3, v14, s12
	s_delay_alu instid0(VALU_DEP_1) | instskip(SKIP_1) | instid1(VALU_DEP_3)
	v_add_co_ci_u32_e64 v16, s3, s13, v15, s3
	s_mov_b32 s3, exec_lo
	v_cmpx_gt_i64_e64 s[10:11], v[2:3]
	s_cbranch_execz .LBB29_67
; %bb.66:
	v_mul_lo_u32 v3, v3, s16
	v_mul_lo_u32 v17, v2, s17
	v_mad_u64_u32 v[6:7], null, v2, s16, 0
	s_delay_alu instid0(VALU_DEP_1) | instskip(NEXT) | instid1(VALU_DEP_1)
	v_add3_u32 v7, v7, v17, v3
	v_lshlrev_b64 v[6:7], 2, v[6:7]
	s_delay_alu instid0(VALU_DEP_1) | instskip(NEXT) | instid1(VALU_DEP_2)
	v_add_co_u32 v6, vcc_lo, v1, v6
	v_add_co_ci_u32_e32 v7, vcc_lo, v16, v7, vcc_lo
	global_load_b32 v3, v[6:7], off
	v_mul_u32_u24_e32 v6, 0x84, v13
	s_delay_alu instid0(VALU_DEP_1)
	v_add3_u32 v6, v12, s6, v6
	s_waitcnt vmcnt(0)
	ds_store_b32 v6, v3
.LBB29_67:
	s_or_b32 exec_lo, exec_lo, s3
	v_add_nc_u32_e32 v6, 8, v2
	s_mov_b32 s3, exec_lo
	s_delay_alu instid0(VALU_DEP_1) | instskip(NEXT) | instid1(VALU_DEP_1)
	v_ashrrev_i32_e32 v7, 31, v6
	v_cmpx_gt_i64_e64 s[10:11], v[6:7]
	s_cbranch_execz .LBB29_69
; %bb.68:
	v_mul_lo_u32 v3, v7, s16
	v_mul_lo_u32 v7, v6, s17
	v_mad_u64_u32 v[17:18], null, v6, s16, 0
	s_delay_alu instid0(VALU_DEP_1) | instskip(NEXT) | instid1(VALU_DEP_1)
	v_add3_u32 v18, v18, v7, v3
	v_lshlrev_b64 v[6:7], 2, v[17:18]
	s_delay_alu instid0(VALU_DEP_1) | instskip(NEXT) | instid1(VALU_DEP_2)
	v_add_co_u32 v6, vcc_lo, v1, v6
	v_add_co_ci_u32_e32 v7, vcc_lo, v16, v7, vcc_lo
	global_load_b32 v3, v[6:7], off
	v_mul_u32_u24_e32 v6, 0x84, v13
	s_delay_alu instid0(VALU_DEP_1)
	v_add3_u32 v6, v12, s6, v6
	s_waitcnt vmcnt(0)
	ds_store_b32 v6, v3 offset:1056
.LBB29_69:
	s_or_b32 exec_lo, exec_lo, s3
	v_add_nc_u32_e32 v6, 16, v2
	s_mov_b32 s3, exec_lo
	s_delay_alu instid0(VALU_DEP_1) | instskip(NEXT) | instid1(VALU_DEP_1)
	v_ashrrev_i32_e32 v7, 31, v6
	v_cmpx_gt_i64_e64 s[10:11], v[6:7]
	s_cbranch_execz .LBB29_71
; %bb.70:
	v_mul_lo_u32 v3, v7, s16
	v_mul_lo_u32 v7, v6, s17
	v_mad_u64_u32 v[17:18], null, v6, s16, 0
	s_delay_alu instid0(VALU_DEP_1) | instskip(NEXT) | instid1(VALU_DEP_1)
	v_add3_u32 v18, v18, v7, v3
	v_lshlrev_b64 v[6:7], 2, v[17:18]
	s_delay_alu instid0(VALU_DEP_1) | instskip(NEXT) | instid1(VALU_DEP_2)
	v_add_co_u32 v6, vcc_lo, v1, v6
	v_add_co_ci_u32_e32 v7, vcc_lo, v16, v7, vcc_lo
	global_load_b32 v3, v[6:7], off
	v_mul_u32_u24_e32 v6, 0x84, v13
	s_delay_alu instid0(VALU_DEP_1)
	v_add3_u32 v6, v12, s6, v6
	s_waitcnt vmcnt(0)
	ds_store_b32 v6, v3 offset:2112
.LBB29_71:
	s_or_b32 exec_lo, exec_lo, s3
	v_add_nc_u32_e32 v6, 24, v2
	s_delay_alu instid0(VALU_DEP_1) | instskip(NEXT) | instid1(VALU_DEP_1)
	v_ashrrev_i32_e32 v7, 31, v6
	v_cmp_gt_i64_e32 vcc_lo, s[10:11], v[6:7]
	s_and_b32 exec_lo, exec_lo, vcc_lo
	s_cbranch_execz .LBB29_73
; %bb.72:
	v_mul_lo_u32 v3, v7, s16
	v_mul_lo_u32 v7, v6, s17
	v_mad_u64_u32 v[17:18], null, v6, s16, 0
	s_delay_alu instid0(VALU_DEP_1) | instskip(SKIP_1) | instid1(VALU_DEP_2)
	v_add3_u32 v18, v18, v7, v3
	v_mul_u32_u24_e32 v3, 0x84, v13
	v_lshlrev_b64 v[6:7], 2, v[17:18]
	s_delay_alu instid0(VALU_DEP_2) | instskip(NEXT) | instid1(VALU_DEP_2)
	v_add3_u32 v3, v12, s6, v3
	v_add_co_u32 v6, vcc_lo, v1, v6
	s_delay_alu instid0(VALU_DEP_3)
	v_add_co_ci_u32_e32 v7, vcc_lo, v16, v7, vcc_lo
	global_load_b32 v1, v[6:7], off
	s_waitcnt vmcnt(0)
	ds_store_b32 v3, v1 offset:3168
.LBB29_73:
	s_or_b32 exec_lo, exec_lo, s7
	v_ashrrev_i32_e32 v1, 31, v0
	v_mul_u32_u24_e32 v3, 0x84, v8
	s_lshl_b64 s[4:5], s[4:5], 2
	s_waitcnt lgkmcnt(0)
	s_waitcnt_vscnt null, 0x0
	s_barrier
	v_cmp_gt_i64_e32 vcc_lo, s[16:17], v[0:1]
	v_add3_u32 v17, v9, s6, v3
	v_add_co_u32 v3, s3, v10, s4
	s_delay_alu instid0(VALU_DEP_1) | instskip(SKIP_3) | instid1(SALU_CYCLE_1)
	v_add_co_ci_u32_e64 v16, s3, s5, v11, s3
	s_xor_b32 s3, s0, -1
	buffer_gl0_inv
	s_and_b32 s5, vcc_lo, s3
	s_and_saveexec_b32 s4, s5
	s_cbranch_execz .LBB29_75
; %bb.74:
	v_mul_lo_u32 v1, v1, s10
	v_mul_lo_u32 v18, v0, s11
	v_mad_u64_u32 v[6:7], null, v0, s10, 0
	ds_load_b32 v19, v17
	v_add3_u32 v7, v7, v18, v1
	s_delay_alu instid0(VALU_DEP_1) | instskip(NEXT) | instid1(VALU_DEP_1)
	v_lshlrev_b64 v[6:7], 2, v[6:7]
	v_add_co_u32 v6, vcc_lo, v3, v6
	s_delay_alu instid0(VALU_DEP_2)
	v_add_co_ci_u32_e32 v7, vcc_lo, v16, v7, vcc_lo
	s_waitcnt lgkmcnt(0)
	global_store_b32 v[6:7], v19, off
.LBB29_75:
	s_or_b32 exec_lo, exec_lo, s4
	v_add_nc_u32_e32 v6, 8, v0
	s_delay_alu instid0(VALU_DEP_1) | instskip(NEXT) | instid1(VALU_DEP_1)
	v_ashrrev_i32_e32 v7, 31, v6
	v_cmp_gt_i64_e32 vcc_lo, s[16:17], v[6:7]
	s_and_b32 s5, vcc_lo, s3
	s_delay_alu instid0(SALU_CYCLE_1)
	s_and_saveexec_b32 s4, s5
	s_cbranch_execz .LBB29_77
; %bb.76:
	v_mul_lo_u32 v1, v7, s10
	v_mul_lo_u32 v7, v6, s11
	v_mad_u64_u32 v[18:19], null, v6, s10, 0
	ds_load_b32 v20, v17 offset:32
	v_add3_u32 v19, v19, v7, v1
	s_delay_alu instid0(VALU_DEP_1) | instskip(NEXT) | instid1(VALU_DEP_1)
	v_lshlrev_b64 v[6:7], 2, v[18:19]
	v_add_co_u32 v6, vcc_lo, v3, v6
	s_delay_alu instid0(VALU_DEP_2)
	v_add_co_ci_u32_e32 v7, vcc_lo, v16, v7, vcc_lo
	s_waitcnt lgkmcnt(0)
	global_store_b32 v[6:7], v20, off
.LBB29_77:
	s_or_b32 exec_lo, exec_lo, s4
	v_add_nc_u32_e32 v6, 16, v0
	s_delay_alu instid0(VALU_DEP_1) | instskip(NEXT) | instid1(VALU_DEP_1)
	v_ashrrev_i32_e32 v7, 31, v6
	v_cmp_gt_i64_e32 vcc_lo, s[16:17], v[6:7]
	s_and_b32 s5, vcc_lo, s3
	s_delay_alu instid0(SALU_CYCLE_1)
	s_and_saveexec_b32 s4, s5
	s_cbranch_execz .LBB29_79
; %bb.78:
	v_mul_lo_u32 v1, v7, s10
	v_mul_lo_u32 v7, v6, s11
	v_mad_u64_u32 v[18:19], null, v6, s10, 0
	ds_load_b32 v20, v17 offset:64
	v_add3_u32 v19, v19, v7, v1
	s_delay_alu instid0(VALU_DEP_1) | instskip(NEXT) | instid1(VALU_DEP_1)
	v_lshlrev_b64 v[6:7], 2, v[18:19]
	v_add_co_u32 v6, vcc_lo, v3, v6
	s_delay_alu instid0(VALU_DEP_2)
	v_add_co_ci_u32_e32 v7, vcc_lo, v16, v7, vcc_lo
	s_waitcnt lgkmcnt(0)
	global_store_b32 v[6:7], v20, off
.LBB29_79:
	;; [unrolled: 23-line block ×3, first 2 shown]
	s_or_b32 exec_lo, exec_lo, s3
	s_xor_b32 s9, s9, 1
.LBB29_82:
	s_delay_alu instid0(VALU_DEP_1)
	s_and_not1_b32 vcc_lo, exec_lo, s2
	s_cbranch_vccnz .LBB29_161
; %bb.83:
	s_or_b32 s4, s8, 4
	s_mov_b32 s5, 0
	s_delay_alu instid0(SALU_CYCLE_1)
	v_cmp_ge_u64_e32 vcc_lo, s[4:5], v[4:5]
	v_cmp_lt_u64_e64 s2, s[4:5], v[4:5]
	s_cbranch_vccnz .LBB29_102
; %bb.84:
	s_mul_i32 s3, s19, s4
	s_mul_hi_u32 s5, s18, s4
	s_mul_i32 s4, s18, s4
	s_add_i32 s5, s5, s3
	s_mul_i32 s6, s9, 0x1080
	s_and_saveexec_b32 s7, s1
	s_cbranch_execz .LBB29_93
; %bb.85:
	s_lshl_b64 s[12:13], s[4:5], 2
	v_ashrrev_i32_e32 v3, 31, v2
	v_add_co_u32 v1, s3, v14, s12
	s_delay_alu instid0(VALU_DEP_1) | instskip(SKIP_1) | instid1(VALU_DEP_3)
	v_add_co_ci_u32_e64 v16, s3, s13, v15, s3
	s_mov_b32 s3, exec_lo
	v_cmpx_gt_i64_e64 s[10:11], v[2:3]
	s_cbranch_execz .LBB29_87
; %bb.86:
	v_mul_lo_u32 v3, v3, s16
	v_mul_lo_u32 v17, v2, s17
	v_mad_u64_u32 v[6:7], null, v2, s16, 0
	s_delay_alu instid0(VALU_DEP_1) | instskip(NEXT) | instid1(VALU_DEP_1)
	v_add3_u32 v7, v7, v17, v3
	v_lshlrev_b64 v[6:7], 2, v[6:7]
	s_delay_alu instid0(VALU_DEP_1) | instskip(NEXT) | instid1(VALU_DEP_2)
	v_add_co_u32 v6, vcc_lo, v1, v6
	v_add_co_ci_u32_e32 v7, vcc_lo, v16, v7, vcc_lo
	global_load_b32 v3, v[6:7], off
	v_mul_u32_u24_e32 v6, 0x84, v13
	s_delay_alu instid0(VALU_DEP_1)
	v_add3_u32 v6, v12, s6, v6
	s_waitcnt vmcnt(0)
	ds_store_b32 v6, v3
.LBB29_87:
	s_or_b32 exec_lo, exec_lo, s3
	v_add_nc_u32_e32 v6, 8, v2
	s_mov_b32 s3, exec_lo
	s_delay_alu instid0(VALU_DEP_1) | instskip(NEXT) | instid1(VALU_DEP_1)
	v_ashrrev_i32_e32 v7, 31, v6
	v_cmpx_gt_i64_e64 s[10:11], v[6:7]
	s_cbranch_execz .LBB29_89
; %bb.88:
	v_mul_lo_u32 v3, v7, s16
	v_mul_lo_u32 v7, v6, s17
	v_mad_u64_u32 v[17:18], null, v6, s16, 0
	s_delay_alu instid0(VALU_DEP_1) | instskip(NEXT) | instid1(VALU_DEP_1)
	v_add3_u32 v18, v18, v7, v3
	v_lshlrev_b64 v[6:7], 2, v[17:18]
	s_delay_alu instid0(VALU_DEP_1) | instskip(NEXT) | instid1(VALU_DEP_2)
	v_add_co_u32 v6, vcc_lo, v1, v6
	v_add_co_ci_u32_e32 v7, vcc_lo, v16, v7, vcc_lo
	global_load_b32 v3, v[6:7], off
	v_mul_u32_u24_e32 v6, 0x84, v13
	s_delay_alu instid0(VALU_DEP_1)
	v_add3_u32 v6, v12, s6, v6
	s_waitcnt vmcnt(0)
	ds_store_b32 v6, v3 offset:1056
.LBB29_89:
	s_or_b32 exec_lo, exec_lo, s3
	v_add_nc_u32_e32 v6, 16, v2
	s_mov_b32 s3, exec_lo
	s_delay_alu instid0(VALU_DEP_1) | instskip(NEXT) | instid1(VALU_DEP_1)
	v_ashrrev_i32_e32 v7, 31, v6
	v_cmpx_gt_i64_e64 s[10:11], v[6:7]
	s_cbranch_execz .LBB29_91
; %bb.90:
	v_mul_lo_u32 v3, v7, s16
	v_mul_lo_u32 v7, v6, s17
	v_mad_u64_u32 v[17:18], null, v6, s16, 0
	s_delay_alu instid0(VALU_DEP_1) | instskip(NEXT) | instid1(VALU_DEP_1)
	v_add3_u32 v18, v18, v7, v3
	v_lshlrev_b64 v[6:7], 2, v[17:18]
	s_delay_alu instid0(VALU_DEP_1) | instskip(NEXT) | instid1(VALU_DEP_2)
	v_add_co_u32 v6, vcc_lo, v1, v6
	v_add_co_ci_u32_e32 v7, vcc_lo, v16, v7, vcc_lo
	global_load_b32 v3, v[6:7], off
	v_mul_u32_u24_e32 v6, 0x84, v13
	s_delay_alu instid0(VALU_DEP_1)
	v_add3_u32 v6, v12, s6, v6
	s_waitcnt vmcnt(0)
	ds_store_b32 v6, v3 offset:2112
.LBB29_91:
	s_or_b32 exec_lo, exec_lo, s3
	v_add_nc_u32_e32 v6, 24, v2
	s_delay_alu instid0(VALU_DEP_1) | instskip(NEXT) | instid1(VALU_DEP_1)
	v_ashrrev_i32_e32 v7, 31, v6
	v_cmp_gt_i64_e32 vcc_lo, s[10:11], v[6:7]
	s_and_b32 exec_lo, exec_lo, vcc_lo
	s_cbranch_execz .LBB29_93
; %bb.92:
	v_mul_lo_u32 v3, v7, s16
	v_mul_lo_u32 v7, v6, s17
	v_mad_u64_u32 v[17:18], null, v6, s16, 0
	s_delay_alu instid0(VALU_DEP_1) | instskip(SKIP_1) | instid1(VALU_DEP_2)
	v_add3_u32 v18, v18, v7, v3
	v_mul_u32_u24_e32 v3, 0x84, v13
	v_lshlrev_b64 v[6:7], 2, v[17:18]
	s_delay_alu instid0(VALU_DEP_2) | instskip(NEXT) | instid1(VALU_DEP_2)
	v_add3_u32 v3, v12, s6, v3
	v_add_co_u32 v6, vcc_lo, v1, v6
	s_delay_alu instid0(VALU_DEP_3)
	v_add_co_ci_u32_e32 v7, vcc_lo, v16, v7, vcc_lo
	global_load_b32 v1, v[6:7], off
	s_waitcnt vmcnt(0)
	ds_store_b32 v3, v1 offset:3168
.LBB29_93:
	s_or_b32 exec_lo, exec_lo, s7
	v_ashrrev_i32_e32 v1, 31, v0
	v_mul_u32_u24_e32 v3, 0x84, v8
	s_lshl_b64 s[4:5], s[4:5], 2
	s_waitcnt lgkmcnt(0)
	s_waitcnt_vscnt null, 0x0
	s_barrier
	v_cmp_gt_i64_e32 vcc_lo, s[16:17], v[0:1]
	v_add3_u32 v17, v9, s6, v3
	v_add_co_u32 v3, s3, v10, s4
	s_delay_alu instid0(VALU_DEP_1) | instskip(SKIP_3) | instid1(SALU_CYCLE_1)
	v_add_co_ci_u32_e64 v16, s3, s5, v11, s3
	s_xor_b32 s3, s0, -1
	buffer_gl0_inv
	s_and_b32 s5, vcc_lo, s3
	s_and_saveexec_b32 s4, s5
	s_cbranch_execz .LBB29_95
; %bb.94:
	v_mul_lo_u32 v1, v1, s10
	v_mul_lo_u32 v18, v0, s11
	v_mad_u64_u32 v[6:7], null, v0, s10, 0
	ds_load_b32 v19, v17
	v_add3_u32 v7, v7, v18, v1
	s_delay_alu instid0(VALU_DEP_1) | instskip(NEXT) | instid1(VALU_DEP_1)
	v_lshlrev_b64 v[6:7], 2, v[6:7]
	v_add_co_u32 v6, vcc_lo, v3, v6
	s_delay_alu instid0(VALU_DEP_2)
	v_add_co_ci_u32_e32 v7, vcc_lo, v16, v7, vcc_lo
	s_waitcnt lgkmcnt(0)
	global_store_b32 v[6:7], v19, off
.LBB29_95:
	s_or_b32 exec_lo, exec_lo, s4
	v_add_nc_u32_e32 v6, 8, v0
	s_delay_alu instid0(VALU_DEP_1) | instskip(NEXT) | instid1(VALU_DEP_1)
	v_ashrrev_i32_e32 v7, 31, v6
	v_cmp_gt_i64_e32 vcc_lo, s[16:17], v[6:7]
	s_and_b32 s5, vcc_lo, s3
	s_delay_alu instid0(SALU_CYCLE_1)
	s_and_saveexec_b32 s4, s5
	s_cbranch_execz .LBB29_97
; %bb.96:
	v_mul_lo_u32 v1, v7, s10
	v_mul_lo_u32 v7, v6, s11
	v_mad_u64_u32 v[18:19], null, v6, s10, 0
	ds_load_b32 v20, v17 offset:32
	v_add3_u32 v19, v19, v7, v1
	s_delay_alu instid0(VALU_DEP_1) | instskip(NEXT) | instid1(VALU_DEP_1)
	v_lshlrev_b64 v[6:7], 2, v[18:19]
	v_add_co_u32 v6, vcc_lo, v3, v6
	s_delay_alu instid0(VALU_DEP_2)
	v_add_co_ci_u32_e32 v7, vcc_lo, v16, v7, vcc_lo
	s_waitcnt lgkmcnt(0)
	global_store_b32 v[6:7], v20, off
.LBB29_97:
	s_or_b32 exec_lo, exec_lo, s4
	v_add_nc_u32_e32 v6, 16, v0
	s_delay_alu instid0(VALU_DEP_1) | instskip(NEXT) | instid1(VALU_DEP_1)
	v_ashrrev_i32_e32 v7, 31, v6
	v_cmp_gt_i64_e32 vcc_lo, s[16:17], v[6:7]
	s_and_b32 s5, vcc_lo, s3
	s_delay_alu instid0(SALU_CYCLE_1)
	s_and_saveexec_b32 s4, s5
	s_cbranch_execz .LBB29_99
; %bb.98:
	v_mul_lo_u32 v1, v7, s10
	v_mul_lo_u32 v7, v6, s11
	v_mad_u64_u32 v[18:19], null, v6, s10, 0
	ds_load_b32 v20, v17 offset:64
	v_add3_u32 v19, v19, v7, v1
	s_delay_alu instid0(VALU_DEP_1) | instskip(NEXT) | instid1(VALU_DEP_1)
	v_lshlrev_b64 v[6:7], 2, v[18:19]
	v_add_co_u32 v6, vcc_lo, v3, v6
	s_delay_alu instid0(VALU_DEP_2)
	v_add_co_ci_u32_e32 v7, vcc_lo, v16, v7, vcc_lo
	s_waitcnt lgkmcnt(0)
	global_store_b32 v[6:7], v20, off
.LBB29_99:
	;; [unrolled: 23-line block ×3, first 2 shown]
	s_or_b32 exec_lo, exec_lo, s3
	s_xor_b32 s9, s9, 1
.LBB29_102:
	s_delay_alu instid0(VALU_DEP_1)
	s_and_not1_b32 vcc_lo, exec_lo, s2
	s_cbranch_vccnz .LBB29_161
; %bb.103:
	s_or_b32 s4, s8, 5
	s_mov_b32 s5, 0
	s_delay_alu instid0(SALU_CYCLE_1)
	v_cmp_ge_u64_e32 vcc_lo, s[4:5], v[4:5]
	v_cmp_lt_u64_e64 s2, s[4:5], v[4:5]
	s_cbranch_vccnz .LBB29_122
; %bb.104:
	s_mul_i32 s3, s19, s4
	s_mul_hi_u32 s5, s18, s4
	s_mul_i32 s4, s18, s4
	s_add_i32 s5, s5, s3
	s_mul_i32 s6, s9, 0x1080
	s_and_saveexec_b32 s7, s1
	s_cbranch_execz .LBB29_113
; %bb.105:
	s_lshl_b64 s[12:13], s[4:5], 2
	v_ashrrev_i32_e32 v3, 31, v2
	v_add_co_u32 v1, s3, v14, s12
	s_delay_alu instid0(VALU_DEP_1) | instskip(SKIP_1) | instid1(VALU_DEP_3)
	v_add_co_ci_u32_e64 v16, s3, s13, v15, s3
	s_mov_b32 s3, exec_lo
	v_cmpx_gt_i64_e64 s[10:11], v[2:3]
	s_cbranch_execz .LBB29_107
; %bb.106:
	v_mul_lo_u32 v3, v3, s16
	v_mul_lo_u32 v17, v2, s17
	v_mad_u64_u32 v[6:7], null, v2, s16, 0
	s_delay_alu instid0(VALU_DEP_1) | instskip(NEXT) | instid1(VALU_DEP_1)
	v_add3_u32 v7, v7, v17, v3
	v_lshlrev_b64 v[6:7], 2, v[6:7]
	s_delay_alu instid0(VALU_DEP_1) | instskip(NEXT) | instid1(VALU_DEP_2)
	v_add_co_u32 v6, vcc_lo, v1, v6
	v_add_co_ci_u32_e32 v7, vcc_lo, v16, v7, vcc_lo
	global_load_b32 v3, v[6:7], off
	v_mul_u32_u24_e32 v6, 0x84, v13
	s_delay_alu instid0(VALU_DEP_1)
	v_add3_u32 v6, v12, s6, v6
	s_waitcnt vmcnt(0)
	ds_store_b32 v6, v3
.LBB29_107:
	s_or_b32 exec_lo, exec_lo, s3
	v_add_nc_u32_e32 v6, 8, v2
	s_mov_b32 s3, exec_lo
	s_delay_alu instid0(VALU_DEP_1) | instskip(NEXT) | instid1(VALU_DEP_1)
	v_ashrrev_i32_e32 v7, 31, v6
	v_cmpx_gt_i64_e64 s[10:11], v[6:7]
	s_cbranch_execz .LBB29_109
; %bb.108:
	v_mul_lo_u32 v3, v7, s16
	v_mul_lo_u32 v7, v6, s17
	v_mad_u64_u32 v[17:18], null, v6, s16, 0
	s_delay_alu instid0(VALU_DEP_1) | instskip(NEXT) | instid1(VALU_DEP_1)
	v_add3_u32 v18, v18, v7, v3
	v_lshlrev_b64 v[6:7], 2, v[17:18]
	s_delay_alu instid0(VALU_DEP_1) | instskip(NEXT) | instid1(VALU_DEP_2)
	v_add_co_u32 v6, vcc_lo, v1, v6
	v_add_co_ci_u32_e32 v7, vcc_lo, v16, v7, vcc_lo
	global_load_b32 v3, v[6:7], off
	v_mul_u32_u24_e32 v6, 0x84, v13
	s_delay_alu instid0(VALU_DEP_1)
	v_add3_u32 v6, v12, s6, v6
	s_waitcnt vmcnt(0)
	ds_store_b32 v6, v3 offset:1056
.LBB29_109:
	s_or_b32 exec_lo, exec_lo, s3
	v_add_nc_u32_e32 v6, 16, v2
	s_mov_b32 s3, exec_lo
	s_delay_alu instid0(VALU_DEP_1) | instskip(NEXT) | instid1(VALU_DEP_1)
	v_ashrrev_i32_e32 v7, 31, v6
	v_cmpx_gt_i64_e64 s[10:11], v[6:7]
	s_cbranch_execz .LBB29_111
; %bb.110:
	v_mul_lo_u32 v3, v7, s16
	v_mul_lo_u32 v7, v6, s17
	v_mad_u64_u32 v[17:18], null, v6, s16, 0
	s_delay_alu instid0(VALU_DEP_1) | instskip(NEXT) | instid1(VALU_DEP_1)
	v_add3_u32 v18, v18, v7, v3
	v_lshlrev_b64 v[6:7], 2, v[17:18]
	s_delay_alu instid0(VALU_DEP_1) | instskip(NEXT) | instid1(VALU_DEP_2)
	v_add_co_u32 v6, vcc_lo, v1, v6
	v_add_co_ci_u32_e32 v7, vcc_lo, v16, v7, vcc_lo
	global_load_b32 v3, v[6:7], off
	v_mul_u32_u24_e32 v6, 0x84, v13
	s_delay_alu instid0(VALU_DEP_1)
	v_add3_u32 v6, v12, s6, v6
	s_waitcnt vmcnt(0)
	ds_store_b32 v6, v3 offset:2112
.LBB29_111:
	s_or_b32 exec_lo, exec_lo, s3
	v_add_nc_u32_e32 v6, 24, v2
	s_delay_alu instid0(VALU_DEP_1) | instskip(NEXT) | instid1(VALU_DEP_1)
	v_ashrrev_i32_e32 v7, 31, v6
	v_cmp_gt_i64_e32 vcc_lo, s[10:11], v[6:7]
	s_and_b32 exec_lo, exec_lo, vcc_lo
	s_cbranch_execz .LBB29_113
; %bb.112:
	v_mul_lo_u32 v3, v7, s16
	v_mul_lo_u32 v7, v6, s17
	v_mad_u64_u32 v[17:18], null, v6, s16, 0
	s_delay_alu instid0(VALU_DEP_1) | instskip(SKIP_1) | instid1(VALU_DEP_2)
	v_add3_u32 v18, v18, v7, v3
	v_mul_u32_u24_e32 v3, 0x84, v13
	v_lshlrev_b64 v[6:7], 2, v[17:18]
	s_delay_alu instid0(VALU_DEP_2) | instskip(NEXT) | instid1(VALU_DEP_2)
	v_add3_u32 v3, v12, s6, v3
	v_add_co_u32 v6, vcc_lo, v1, v6
	s_delay_alu instid0(VALU_DEP_3)
	v_add_co_ci_u32_e32 v7, vcc_lo, v16, v7, vcc_lo
	global_load_b32 v1, v[6:7], off
	s_waitcnt vmcnt(0)
	ds_store_b32 v3, v1 offset:3168
.LBB29_113:
	s_or_b32 exec_lo, exec_lo, s7
	v_ashrrev_i32_e32 v1, 31, v0
	v_mul_u32_u24_e32 v3, 0x84, v8
	s_lshl_b64 s[4:5], s[4:5], 2
	s_waitcnt lgkmcnt(0)
	s_waitcnt_vscnt null, 0x0
	s_barrier
	v_cmp_gt_i64_e32 vcc_lo, s[16:17], v[0:1]
	v_add3_u32 v17, v9, s6, v3
	v_add_co_u32 v3, s3, v10, s4
	s_delay_alu instid0(VALU_DEP_1) | instskip(SKIP_3) | instid1(SALU_CYCLE_1)
	v_add_co_ci_u32_e64 v16, s3, s5, v11, s3
	s_xor_b32 s3, s0, -1
	buffer_gl0_inv
	s_and_b32 s5, vcc_lo, s3
	s_and_saveexec_b32 s4, s5
	s_cbranch_execz .LBB29_115
; %bb.114:
	v_mul_lo_u32 v1, v1, s10
	v_mul_lo_u32 v18, v0, s11
	v_mad_u64_u32 v[6:7], null, v0, s10, 0
	ds_load_b32 v19, v17
	v_add3_u32 v7, v7, v18, v1
	s_delay_alu instid0(VALU_DEP_1) | instskip(NEXT) | instid1(VALU_DEP_1)
	v_lshlrev_b64 v[6:7], 2, v[6:7]
	v_add_co_u32 v6, vcc_lo, v3, v6
	s_delay_alu instid0(VALU_DEP_2)
	v_add_co_ci_u32_e32 v7, vcc_lo, v16, v7, vcc_lo
	s_waitcnt lgkmcnt(0)
	global_store_b32 v[6:7], v19, off
.LBB29_115:
	s_or_b32 exec_lo, exec_lo, s4
	v_add_nc_u32_e32 v6, 8, v0
	s_delay_alu instid0(VALU_DEP_1) | instskip(NEXT) | instid1(VALU_DEP_1)
	v_ashrrev_i32_e32 v7, 31, v6
	v_cmp_gt_i64_e32 vcc_lo, s[16:17], v[6:7]
	s_and_b32 s5, vcc_lo, s3
	s_delay_alu instid0(SALU_CYCLE_1)
	s_and_saveexec_b32 s4, s5
	s_cbranch_execz .LBB29_117
; %bb.116:
	v_mul_lo_u32 v1, v7, s10
	v_mul_lo_u32 v7, v6, s11
	v_mad_u64_u32 v[18:19], null, v6, s10, 0
	ds_load_b32 v20, v17 offset:32
	v_add3_u32 v19, v19, v7, v1
	s_delay_alu instid0(VALU_DEP_1) | instskip(NEXT) | instid1(VALU_DEP_1)
	v_lshlrev_b64 v[6:7], 2, v[18:19]
	v_add_co_u32 v6, vcc_lo, v3, v6
	s_delay_alu instid0(VALU_DEP_2)
	v_add_co_ci_u32_e32 v7, vcc_lo, v16, v7, vcc_lo
	s_waitcnt lgkmcnt(0)
	global_store_b32 v[6:7], v20, off
.LBB29_117:
	s_or_b32 exec_lo, exec_lo, s4
	v_add_nc_u32_e32 v6, 16, v0
	s_delay_alu instid0(VALU_DEP_1) | instskip(NEXT) | instid1(VALU_DEP_1)
	v_ashrrev_i32_e32 v7, 31, v6
	v_cmp_gt_i64_e32 vcc_lo, s[16:17], v[6:7]
	s_and_b32 s5, vcc_lo, s3
	s_delay_alu instid0(SALU_CYCLE_1)
	s_and_saveexec_b32 s4, s5
	s_cbranch_execz .LBB29_119
; %bb.118:
	v_mul_lo_u32 v1, v7, s10
	v_mul_lo_u32 v7, v6, s11
	v_mad_u64_u32 v[18:19], null, v6, s10, 0
	ds_load_b32 v20, v17 offset:64
	v_add3_u32 v19, v19, v7, v1
	s_delay_alu instid0(VALU_DEP_1) | instskip(NEXT) | instid1(VALU_DEP_1)
	v_lshlrev_b64 v[6:7], 2, v[18:19]
	v_add_co_u32 v6, vcc_lo, v3, v6
	s_delay_alu instid0(VALU_DEP_2)
	v_add_co_ci_u32_e32 v7, vcc_lo, v16, v7, vcc_lo
	s_waitcnt lgkmcnt(0)
	global_store_b32 v[6:7], v20, off
.LBB29_119:
	;; [unrolled: 23-line block ×3, first 2 shown]
	s_or_b32 exec_lo, exec_lo, s3
	s_xor_b32 s9, s9, 1
.LBB29_122:
	s_delay_alu instid0(VALU_DEP_1)
	s_and_not1_b32 vcc_lo, exec_lo, s2
	s_cbranch_vccnz .LBB29_161
; %bb.123:
	s_or_b32 s4, s8, 6
	s_mov_b32 s5, 0
	s_delay_alu instid0(SALU_CYCLE_1)
	v_cmp_ge_u64_e32 vcc_lo, s[4:5], v[4:5]
	v_cmp_lt_u64_e64 s2, s[4:5], v[4:5]
	s_cbranch_vccnz .LBB29_142
; %bb.124:
	s_mul_i32 s3, s19, s4
	s_mul_hi_u32 s5, s18, s4
	s_mul_i32 s4, s18, s4
	s_add_i32 s5, s5, s3
	s_mul_i32 s6, s9, 0x1080
	s_and_saveexec_b32 s7, s1
	s_cbranch_execz .LBB29_133
; %bb.125:
	s_lshl_b64 s[12:13], s[4:5], 2
	v_ashrrev_i32_e32 v3, 31, v2
	v_add_co_u32 v1, s3, v14, s12
	s_delay_alu instid0(VALU_DEP_1) | instskip(SKIP_1) | instid1(VALU_DEP_3)
	v_add_co_ci_u32_e64 v16, s3, s13, v15, s3
	s_mov_b32 s3, exec_lo
	v_cmpx_gt_i64_e64 s[10:11], v[2:3]
	s_cbranch_execz .LBB29_127
; %bb.126:
	v_mul_lo_u32 v3, v3, s16
	v_mul_lo_u32 v17, v2, s17
	v_mad_u64_u32 v[6:7], null, v2, s16, 0
	s_delay_alu instid0(VALU_DEP_1) | instskip(NEXT) | instid1(VALU_DEP_1)
	v_add3_u32 v7, v7, v17, v3
	v_lshlrev_b64 v[6:7], 2, v[6:7]
	s_delay_alu instid0(VALU_DEP_1) | instskip(NEXT) | instid1(VALU_DEP_2)
	v_add_co_u32 v6, vcc_lo, v1, v6
	v_add_co_ci_u32_e32 v7, vcc_lo, v16, v7, vcc_lo
	global_load_b32 v3, v[6:7], off
	v_mul_u32_u24_e32 v6, 0x84, v13
	s_delay_alu instid0(VALU_DEP_1)
	v_add3_u32 v6, v12, s6, v6
	s_waitcnt vmcnt(0)
	ds_store_b32 v6, v3
.LBB29_127:
	s_or_b32 exec_lo, exec_lo, s3
	v_add_nc_u32_e32 v6, 8, v2
	s_mov_b32 s3, exec_lo
	s_delay_alu instid0(VALU_DEP_1) | instskip(NEXT) | instid1(VALU_DEP_1)
	v_ashrrev_i32_e32 v7, 31, v6
	v_cmpx_gt_i64_e64 s[10:11], v[6:7]
	s_cbranch_execz .LBB29_129
; %bb.128:
	v_mul_lo_u32 v3, v7, s16
	v_mul_lo_u32 v7, v6, s17
	v_mad_u64_u32 v[17:18], null, v6, s16, 0
	s_delay_alu instid0(VALU_DEP_1) | instskip(NEXT) | instid1(VALU_DEP_1)
	v_add3_u32 v18, v18, v7, v3
	v_lshlrev_b64 v[6:7], 2, v[17:18]
	s_delay_alu instid0(VALU_DEP_1) | instskip(NEXT) | instid1(VALU_DEP_2)
	v_add_co_u32 v6, vcc_lo, v1, v6
	v_add_co_ci_u32_e32 v7, vcc_lo, v16, v7, vcc_lo
	global_load_b32 v3, v[6:7], off
	v_mul_u32_u24_e32 v6, 0x84, v13
	s_delay_alu instid0(VALU_DEP_1)
	v_add3_u32 v6, v12, s6, v6
	s_waitcnt vmcnt(0)
	ds_store_b32 v6, v3 offset:1056
.LBB29_129:
	s_or_b32 exec_lo, exec_lo, s3
	v_add_nc_u32_e32 v6, 16, v2
	s_mov_b32 s3, exec_lo
	s_delay_alu instid0(VALU_DEP_1) | instskip(NEXT) | instid1(VALU_DEP_1)
	v_ashrrev_i32_e32 v7, 31, v6
	v_cmpx_gt_i64_e64 s[10:11], v[6:7]
	s_cbranch_execz .LBB29_131
; %bb.130:
	v_mul_lo_u32 v3, v7, s16
	v_mul_lo_u32 v7, v6, s17
	v_mad_u64_u32 v[17:18], null, v6, s16, 0
	s_delay_alu instid0(VALU_DEP_1) | instskip(NEXT) | instid1(VALU_DEP_1)
	v_add3_u32 v18, v18, v7, v3
	v_lshlrev_b64 v[6:7], 2, v[17:18]
	s_delay_alu instid0(VALU_DEP_1) | instskip(NEXT) | instid1(VALU_DEP_2)
	v_add_co_u32 v6, vcc_lo, v1, v6
	v_add_co_ci_u32_e32 v7, vcc_lo, v16, v7, vcc_lo
	global_load_b32 v3, v[6:7], off
	v_mul_u32_u24_e32 v6, 0x84, v13
	s_delay_alu instid0(VALU_DEP_1)
	v_add3_u32 v6, v12, s6, v6
	s_waitcnt vmcnt(0)
	ds_store_b32 v6, v3 offset:2112
.LBB29_131:
	s_or_b32 exec_lo, exec_lo, s3
	v_add_nc_u32_e32 v6, 24, v2
	s_delay_alu instid0(VALU_DEP_1) | instskip(NEXT) | instid1(VALU_DEP_1)
	v_ashrrev_i32_e32 v7, 31, v6
	v_cmp_gt_i64_e32 vcc_lo, s[10:11], v[6:7]
	s_and_b32 exec_lo, exec_lo, vcc_lo
	s_cbranch_execz .LBB29_133
; %bb.132:
	v_mul_lo_u32 v3, v7, s16
	v_mul_lo_u32 v7, v6, s17
	v_mad_u64_u32 v[17:18], null, v6, s16, 0
	s_delay_alu instid0(VALU_DEP_1) | instskip(SKIP_1) | instid1(VALU_DEP_2)
	v_add3_u32 v18, v18, v7, v3
	v_mul_u32_u24_e32 v3, 0x84, v13
	v_lshlrev_b64 v[6:7], 2, v[17:18]
	s_delay_alu instid0(VALU_DEP_2) | instskip(NEXT) | instid1(VALU_DEP_2)
	v_add3_u32 v3, v12, s6, v3
	v_add_co_u32 v6, vcc_lo, v1, v6
	s_delay_alu instid0(VALU_DEP_3)
	v_add_co_ci_u32_e32 v7, vcc_lo, v16, v7, vcc_lo
	global_load_b32 v1, v[6:7], off
	s_waitcnt vmcnt(0)
	ds_store_b32 v3, v1 offset:3168
.LBB29_133:
	s_or_b32 exec_lo, exec_lo, s7
	v_ashrrev_i32_e32 v1, 31, v0
	v_mul_u32_u24_e32 v3, 0x84, v8
	s_lshl_b64 s[4:5], s[4:5], 2
	s_waitcnt lgkmcnt(0)
	s_waitcnt_vscnt null, 0x0
	s_barrier
	v_cmp_gt_i64_e32 vcc_lo, s[16:17], v[0:1]
	v_add3_u32 v17, v9, s6, v3
	v_add_co_u32 v3, s3, v10, s4
	s_delay_alu instid0(VALU_DEP_1) | instskip(SKIP_3) | instid1(SALU_CYCLE_1)
	v_add_co_ci_u32_e64 v16, s3, s5, v11, s3
	s_xor_b32 s3, s0, -1
	buffer_gl0_inv
	s_and_b32 s5, vcc_lo, s3
	s_and_saveexec_b32 s4, s5
	s_cbranch_execz .LBB29_135
; %bb.134:
	v_mul_lo_u32 v1, v1, s10
	v_mul_lo_u32 v18, v0, s11
	v_mad_u64_u32 v[6:7], null, v0, s10, 0
	ds_load_b32 v19, v17
	v_add3_u32 v7, v7, v18, v1
	s_delay_alu instid0(VALU_DEP_1) | instskip(NEXT) | instid1(VALU_DEP_1)
	v_lshlrev_b64 v[6:7], 2, v[6:7]
	v_add_co_u32 v6, vcc_lo, v3, v6
	s_delay_alu instid0(VALU_DEP_2)
	v_add_co_ci_u32_e32 v7, vcc_lo, v16, v7, vcc_lo
	s_waitcnt lgkmcnt(0)
	global_store_b32 v[6:7], v19, off
.LBB29_135:
	s_or_b32 exec_lo, exec_lo, s4
	v_add_nc_u32_e32 v6, 8, v0
	s_delay_alu instid0(VALU_DEP_1) | instskip(NEXT) | instid1(VALU_DEP_1)
	v_ashrrev_i32_e32 v7, 31, v6
	v_cmp_gt_i64_e32 vcc_lo, s[16:17], v[6:7]
	s_and_b32 s5, vcc_lo, s3
	s_delay_alu instid0(SALU_CYCLE_1)
	s_and_saveexec_b32 s4, s5
	s_cbranch_execz .LBB29_137
; %bb.136:
	v_mul_lo_u32 v1, v7, s10
	v_mul_lo_u32 v7, v6, s11
	v_mad_u64_u32 v[18:19], null, v6, s10, 0
	ds_load_b32 v20, v17 offset:32
	v_add3_u32 v19, v19, v7, v1
	s_delay_alu instid0(VALU_DEP_1) | instskip(NEXT) | instid1(VALU_DEP_1)
	v_lshlrev_b64 v[6:7], 2, v[18:19]
	v_add_co_u32 v6, vcc_lo, v3, v6
	s_delay_alu instid0(VALU_DEP_2)
	v_add_co_ci_u32_e32 v7, vcc_lo, v16, v7, vcc_lo
	s_waitcnt lgkmcnt(0)
	global_store_b32 v[6:7], v20, off
.LBB29_137:
	s_or_b32 exec_lo, exec_lo, s4
	v_add_nc_u32_e32 v6, 16, v0
	s_delay_alu instid0(VALU_DEP_1) | instskip(NEXT) | instid1(VALU_DEP_1)
	v_ashrrev_i32_e32 v7, 31, v6
	v_cmp_gt_i64_e32 vcc_lo, s[16:17], v[6:7]
	s_and_b32 s5, vcc_lo, s3
	s_delay_alu instid0(SALU_CYCLE_1)
	s_and_saveexec_b32 s4, s5
	s_cbranch_execz .LBB29_139
; %bb.138:
	v_mul_lo_u32 v1, v7, s10
	v_mul_lo_u32 v7, v6, s11
	v_mad_u64_u32 v[18:19], null, v6, s10, 0
	ds_load_b32 v20, v17 offset:64
	v_add3_u32 v19, v19, v7, v1
	s_delay_alu instid0(VALU_DEP_1) | instskip(NEXT) | instid1(VALU_DEP_1)
	v_lshlrev_b64 v[6:7], 2, v[18:19]
	v_add_co_u32 v6, vcc_lo, v3, v6
	s_delay_alu instid0(VALU_DEP_2)
	v_add_co_ci_u32_e32 v7, vcc_lo, v16, v7, vcc_lo
	s_waitcnt lgkmcnt(0)
	global_store_b32 v[6:7], v20, off
.LBB29_139:
	;; [unrolled: 23-line block ×3, first 2 shown]
	s_or_b32 exec_lo, exec_lo, s3
	s_xor_b32 s9, s9, 1
.LBB29_142:
	s_delay_alu instid0(VALU_DEP_1)
	s_and_not1_b32 vcc_lo, exec_lo, s2
	s_cbranch_vccnz .LBB29_161
; %bb.143:
	s_or_b32 s2, s8, 7
	s_mov_b32 s3, 0
	s_delay_alu instid0(SALU_CYCLE_1)
	v_cmp_ge_u64_e32 vcc_lo, s[2:3], v[4:5]
	s_cbranch_vccnz .LBB29_161
; %bb.144:
	s_mul_i32 s3, s19, s2
	s_mul_hi_u32 s4, s18, s2
	s_mul_i32 s2, s18, s2
	s_add_i32 s3, s4, s3
	s_mul_i32 s4, s9, 0x1080
	s_and_saveexec_b32 s5, s1
	s_cbranch_execz .LBB29_153
; %bb.145:
	s_lshl_b64 s[6:7], s[2:3], 2
	v_ashrrev_i32_e32 v3, 31, v2
	v_add_co_u32 v5, vcc_lo, v14, s6
	v_add_co_ci_u32_e32 v6, vcc_lo, s7, v15, vcc_lo
	v_mul_u32_u24_e32 v7, 0x84, v13
	s_mov_b32 s1, exec_lo
	v_cmpx_gt_i64_e64 s[10:11], v[2:3]
	s_cbranch_execz .LBB29_147
; %bb.146:
	v_mul_lo_u32 v1, v3, s16
	v_mul_lo_u32 v13, v2, s17
	v_mad_u64_u32 v[3:4], null, v2, s16, 0
	s_delay_alu instid0(VALU_DEP_1) | instskip(NEXT) | instid1(VALU_DEP_1)
	v_add3_u32 v4, v4, v13, v1
	v_lshlrev_b64 v[3:4], 2, v[3:4]
	s_delay_alu instid0(VALU_DEP_1) | instskip(NEXT) | instid1(VALU_DEP_2)
	v_add_co_u32 v3, vcc_lo, v5, v3
	v_add_co_ci_u32_e32 v4, vcc_lo, v6, v4, vcc_lo
	global_load_b32 v1, v[3:4], off
	v_add3_u32 v3, v12, s4, v7
	s_waitcnt vmcnt(0)
	ds_store_b32 v3, v1
.LBB29_147:
	s_or_b32 exec_lo, exec_lo, s1
	v_add_nc_u32_e32 v3, 8, v2
	s_mov_b32 s1, exec_lo
	s_delay_alu instid0(VALU_DEP_1) | instskip(NEXT) | instid1(VALU_DEP_1)
	v_ashrrev_i32_e32 v4, 31, v3
	v_cmpx_gt_i64_e64 s[10:11], v[3:4]
	s_cbranch_execz .LBB29_149
; %bb.148:
	v_mul_lo_u32 v1, v4, s16
	v_mul_lo_u32 v4, v3, s17
	v_mad_u64_u32 v[13:14], null, v3, s16, 0
	s_delay_alu instid0(VALU_DEP_1) | instskip(NEXT) | instid1(VALU_DEP_1)
	v_add3_u32 v14, v14, v4, v1
	v_lshlrev_b64 v[3:4], 2, v[13:14]
	s_delay_alu instid0(VALU_DEP_1) | instskip(NEXT) | instid1(VALU_DEP_2)
	v_add_co_u32 v3, vcc_lo, v5, v3
	v_add_co_ci_u32_e32 v4, vcc_lo, v6, v4, vcc_lo
	global_load_b32 v1, v[3:4], off
	v_add3_u32 v3, v12, s4, v7
	s_waitcnt vmcnt(0)
	ds_store_b32 v3, v1 offset:1056
.LBB29_149:
	s_or_b32 exec_lo, exec_lo, s1
	v_add_nc_u32_e32 v3, 16, v2
	s_mov_b32 s1, exec_lo
	s_delay_alu instid0(VALU_DEP_1) | instskip(NEXT) | instid1(VALU_DEP_1)
	v_ashrrev_i32_e32 v4, 31, v3
	v_cmpx_gt_i64_e64 s[10:11], v[3:4]
	s_cbranch_execz .LBB29_151
; %bb.150:
	v_mul_lo_u32 v1, v4, s16
	v_mul_lo_u32 v4, v3, s17
	v_mad_u64_u32 v[13:14], null, v3, s16, 0
	s_delay_alu instid0(VALU_DEP_1) | instskip(NEXT) | instid1(VALU_DEP_1)
	v_add3_u32 v14, v14, v4, v1
	v_lshlrev_b64 v[3:4], 2, v[13:14]
	s_delay_alu instid0(VALU_DEP_1) | instskip(NEXT) | instid1(VALU_DEP_2)
	v_add_co_u32 v3, vcc_lo, v5, v3
	v_add_co_ci_u32_e32 v4, vcc_lo, v6, v4, vcc_lo
	global_load_b32 v1, v[3:4], off
	v_add3_u32 v3, v12, s4, v7
	s_waitcnt vmcnt(0)
	ds_store_b32 v3, v1 offset:2112
.LBB29_151:
	s_or_b32 exec_lo, exec_lo, s1
	v_add_nc_u32_e32 v1, 24, v2
	s_delay_alu instid0(VALU_DEP_1) | instskip(NEXT) | instid1(VALU_DEP_1)
	v_ashrrev_i32_e32 v2, 31, v1
	v_cmp_gt_i64_e32 vcc_lo, s[10:11], v[1:2]
	s_and_b32 exec_lo, exec_lo, vcc_lo
	s_cbranch_execz .LBB29_153
; %bb.152:
	v_mul_lo_u32 v4, v2, s16
	v_mul_lo_u32 v13, v1, s17
	v_mad_u64_u32 v[2:3], null, v1, s16, 0
	s_delay_alu instid0(VALU_DEP_1) | instskip(NEXT) | instid1(VALU_DEP_1)
	v_add3_u32 v3, v3, v13, v4
	v_lshlrev_b64 v[1:2], 2, v[2:3]
	s_delay_alu instid0(VALU_DEP_1) | instskip(NEXT) | instid1(VALU_DEP_2)
	v_add_co_u32 v1, vcc_lo, v5, v1
	v_add_co_ci_u32_e32 v2, vcc_lo, v6, v2, vcc_lo
	global_load_b32 v1, v[1:2], off
	v_add3_u32 v2, v12, s4, v7
	s_waitcnt vmcnt(0)
	ds_store_b32 v2, v1 offset:3168
.LBB29_153:
	s_or_b32 exec_lo, exec_lo, s5
	v_ashrrev_i32_e32 v1, 31, v0
	v_mul_u32_u24_e32 v2, 0x84, v8
	s_lshl_b64 s[2:3], s[2:3], 2
	s_xor_b32 s0, s0, -1
	v_add_co_u32 v3, s1, v10, s2
	v_cmp_gt_i64_e32 vcc_lo, s[16:17], v[0:1]
	v_add3_u32 v5, v9, s4, v2
	v_add_co_ci_u32_e64 v4, s1, s3, v11, s1
	s_waitcnt lgkmcnt(0)
	s_waitcnt_vscnt null, 0x0
	s_barrier
	s_and_b32 s2, vcc_lo, s0
	buffer_gl0_inv
	s_and_saveexec_b32 s1, s2
	s_cbranch_execz .LBB29_155
; %bb.154:
	v_mul_lo_u32 v6, v1, s10
	v_mul_lo_u32 v7, v0, s11
	v_mad_u64_u32 v[1:2], null, v0, s10, 0
	ds_load_b32 v8, v5
	v_add3_u32 v2, v2, v7, v6
	s_delay_alu instid0(VALU_DEP_1) | instskip(NEXT) | instid1(VALU_DEP_1)
	v_lshlrev_b64 v[1:2], 2, v[1:2]
	v_add_co_u32 v1, vcc_lo, v3, v1
	s_delay_alu instid0(VALU_DEP_2)
	v_add_co_ci_u32_e32 v2, vcc_lo, v4, v2, vcc_lo
	s_waitcnt lgkmcnt(0)
	global_store_b32 v[1:2], v8, off
.LBB29_155:
	s_or_b32 exec_lo, exec_lo, s1
	v_add_nc_u32_e32 v1, 8, v0
	s_delay_alu instid0(VALU_DEP_1) | instskip(NEXT) | instid1(VALU_DEP_1)
	v_ashrrev_i32_e32 v2, 31, v1
	v_cmp_gt_i64_e32 vcc_lo, s[16:17], v[1:2]
	s_and_b32 s2, vcc_lo, s0
	s_delay_alu instid0(SALU_CYCLE_1)
	s_and_saveexec_b32 s1, s2
	s_cbranch_execz .LBB29_157
; %bb.156:
	v_mul_lo_u32 v2, v2, s10
	v_mul_lo_u32 v8, v1, s11
	v_mad_u64_u32 v[6:7], null, v1, s10, 0
	ds_load_b32 v9, v5 offset:32
	v_add3_u32 v7, v7, v8, v2
	s_delay_alu instid0(VALU_DEP_1) | instskip(NEXT) | instid1(VALU_DEP_1)
	v_lshlrev_b64 v[1:2], 2, v[6:7]
	v_add_co_u32 v1, vcc_lo, v3, v1
	s_delay_alu instid0(VALU_DEP_2)
	v_add_co_ci_u32_e32 v2, vcc_lo, v4, v2, vcc_lo
	s_waitcnt lgkmcnt(0)
	global_store_b32 v[1:2], v9, off
.LBB29_157:
	s_or_b32 exec_lo, exec_lo, s1
	v_add_nc_u32_e32 v1, 16, v0
	s_delay_alu instid0(VALU_DEP_1) | instskip(NEXT) | instid1(VALU_DEP_1)
	v_ashrrev_i32_e32 v2, 31, v1
	v_cmp_gt_i64_e32 vcc_lo, s[16:17], v[1:2]
	s_and_b32 s2, vcc_lo, s0
	s_delay_alu instid0(SALU_CYCLE_1)
	s_and_saveexec_b32 s1, s2
	s_cbranch_execz .LBB29_159
; %bb.158:
	v_mul_lo_u32 v2, v2, s10
	v_mul_lo_u32 v8, v1, s11
	v_mad_u64_u32 v[6:7], null, v1, s10, 0
	ds_load_b32 v9, v5 offset:64
	v_add3_u32 v7, v7, v8, v2
	s_delay_alu instid0(VALU_DEP_1) | instskip(NEXT) | instid1(VALU_DEP_1)
	v_lshlrev_b64 v[1:2], 2, v[6:7]
	v_add_co_u32 v1, vcc_lo, v3, v1
	s_delay_alu instid0(VALU_DEP_2)
	v_add_co_ci_u32_e32 v2, vcc_lo, v4, v2, vcc_lo
	s_waitcnt lgkmcnt(0)
	global_store_b32 v[1:2], v9, off
.LBB29_159:
	s_or_b32 exec_lo, exec_lo, s1
	v_add_nc_u32_e32 v0, 24, v0
	s_delay_alu instid0(VALU_DEP_1) | instskip(NEXT) | instid1(VALU_DEP_1)
	v_ashrrev_i32_e32 v1, 31, v0
	v_cmp_gt_i64_e32 vcc_lo, s[16:17], v[0:1]
	s_and_b32 s0, vcc_lo, s0
	s_delay_alu instid0(SALU_CYCLE_1)
	s_and_saveexec_b32 s1, s0
	s_cbranch_execz .LBB29_161
; %bb.160:
	v_mul_lo_u32 v6, v1, s10
	v_mul_lo_u32 v7, v0, s11
	v_mad_u64_u32 v[1:2], null, v0, s10, 0
	ds_load_b32 v5, v5 offset:96
	v_add3_u32 v2, v2, v7, v6
	s_delay_alu instid0(VALU_DEP_1) | instskip(NEXT) | instid1(VALU_DEP_1)
	v_lshlrev_b64 v[0:1], 2, v[1:2]
	v_add_co_u32 v0, vcc_lo, v3, v0
	s_delay_alu instid0(VALU_DEP_2)
	v_add_co_ci_u32_e32 v1, vcc_lo, v4, v1, vcc_lo
	s_waitcnt lgkmcnt(0)
	global_store_b32 v[0:1], v5, off
.LBB29_161:
	s_nop 0
	s_sendmsg sendmsg(MSG_DEALLOC_VGPRS)
	s_endpgm
.LBB29_162:
                                        ; implicit-def: $vgpr4_vgpr5
	s_branch .LBB29_2
	.section	.rodata,"a",@progbits
	.p2align	6, 0x0
	.amdhsa_kernel _ZL20cpy_scalar_transposeIiEvPKcPclllllllllllllll
		.amdhsa_group_segment_fixed_size 8448
		.amdhsa_private_segment_fixed_size 0
		.amdhsa_kernarg_size 136
		.amdhsa_user_sgpr_count 13
		.amdhsa_user_sgpr_dispatch_ptr 0
		.amdhsa_user_sgpr_queue_ptr 0
		.amdhsa_user_sgpr_kernarg_segment_ptr 1
		.amdhsa_user_sgpr_dispatch_id 0
		.amdhsa_user_sgpr_private_segment_size 0
		.amdhsa_wavefront_size32 1
		.amdhsa_uses_dynamic_stack 0
		.amdhsa_enable_private_segment 0
		.amdhsa_system_sgpr_workgroup_id_x 1
		.amdhsa_system_sgpr_workgroup_id_y 1
		.amdhsa_system_sgpr_workgroup_id_z 1
		.amdhsa_system_sgpr_workgroup_info 0
		.amdhsa_system_vgpr_workitem_id 1
		.amdhsa_next_free_vgpr 21
		.amdhsa_next_free_sgpr 30
		.amdhsa_reserve_vcc 1
		.amdhsa_float_round_mode_32 0
		.amdhsa_float_round_mode_16_64 0
		.amdhsa_float_denorm_mode_32 3
		.amdhsa_float_denorm_mode_16_64 3
		.amdhsa_dx10_clamp 1
		.amdhsa_ieee_mode 1
		.amdhsa_fp16_overflow 0
		.amdhsa_workgroup_processor_mode 1
		.amdhsa_memory_ordered 1
		.amdhsa_forward_progress 0
		.amdhsa_shared_vgpr_count 0
		.amdhsa_exception_fp_ieee_invalid_op 0
		.amdhsa_exception_fp_denorm_src 0
		.amdhsa_exception_fp_ieee_div_zero 0
		.amdhsa_exception_fp_ieee_overflow 0
		.amdhsa_exception_fp_ieee_underflow 0
		.amdhsa_exception_fp_ieee_inexact 0
		.amdhsa_exception_int_div_zero 0
	.end_amdhsa_kernel
	.section	.text._ZL20cpy_scalar_transposeIiEvPKcPclllllllllllllll,"axG",@progbits,_ZL20cpy_scalar_transposeIiEvPKcPclllllllllllllll,comdat
.Lfunc_end29:
	.size	_ZL20cpy_scalar_transposeIiEvPKcPclllllllllllllll, .Lfunc_end29-_ZL20cpy_scalar_transposeIiEvPKcPclllllllllllllll
                                        ; -- End function
	.section	.AMDGPU.csdata,"",@progbits
; Kernel info:
; codeLenInByte = 9868
; NumSgprs: 32
; NumVgprs: 21
; ScratchSize: 0
; MemoryBound: 0
; FloatMode: 240
; IeeeMode: 1
; LDSByteSize: 8448 bytes/workgroup (compile time only)
; SGPRBlocks: 3
; VGPRBlocks: 2
; NumSGPRsForWavesPerEU: 32
; NumVGPRsForWavesPerEU: 21
; Occupancy: 16
; WaveLimiterHint : 0
; COMPUTE_PGM_RSRC2:SCRATCH_EN: 0
; COMPUTE_PGM_RSRC2:USER_SGPR: 13
; COMPUTE_PGM_RSRC2:TRAP_HANDLER: 0
; COMPUTE_PGM_RSRC2:TGID_X_EN: 1
; COMPUTE_PGM_RSRC2:TGID_Y_EN: 1
; COMPUTE_PGM_RSRC2:TGID_Z_EN: 1
; COMPUTE_PGM_RSRC2:TIDIG_COMP_CNT: 1
	.section	.text._ZL10cpy_scalarIXadL_ZL12cpy_1_scalarIiiEvPKcPcEEEvS2_S3_lllllllllllllll,"axG",@progbits,_ZL10cpy_scalarIXadL_ZL12cpy_1_scalarIiiEvPKcPcEEEvS2_S3_lllllllllllllll,comdat
	.globl	_ZL10cpy_scalarIXadL_ZL12cpy_1_scalarIiiEvPKcPcEEEvS2_S3_lllllllllllllll ; -- Begin function _ZL10cpy_scalarIXadL_ZL12cpy_1_scalarIiiEvPKcPcEEEvS2_S3_lllllllllllllll
	.p2align	8
	.type	_ZL10cpy_scalarIXadL_ZL12cpy_1_scalarIiiEvPKcPcEEEvS2_S3_lllllllllllllll,@function
_ZL10cpy_scalarIXadL_ZL12cpy_1_scalarIiiEvPKcPcEEEvS2_S3_lllllllllllllll: ; @_ZL10cpy_scalarIXadL_ZL12cpy_1_scalarIiiEvPKcPcEEEvS2_S3_lllllllllllllll
; %bb.0:
	s_clause 0x1
	s_load_b32 s2, s[0:1], 0x94
	s_load_b512 s[16:31], s[0:1], 0x0
	v_mov_b32_e32 v2, 0
	s_delay_alu instid0(VALU_DEP_1)
	v_mov_b32_e32 v1, v2
	s_waitcnt lgkmcnt(0)
	s_and_b32 s2, s2, 0xffff
	s_delay_alu instid0(VALU_DEP_1) | instid1(SALU_CYCLE_1)
	v_mad_u64_u32 v[4:5], null, s2, s15, v[0:1]
	s_mov_b32 s2, exec_lo
	s_delay_alu instid0(VALU_DEP_1)
	v_cmpx_gt_i64_e64 s[20:21], v[4:5]
	s_cbranch_execz .LBB30_26
; %bb.1:
	s_mul_i32 s2, s24, s23
	s_mul_hi_u32 s3, s24, s22
	v_ashrrev_i32_e32 v10, 31, v5
	s_add_i32 s8, s3, s2
	s_mul_i32 s3, s24, s22
	s_mul_i32 s2, s25, s22
	;; [unrolled: 1-line block ×3, first 2 shown]
	s_mul_hi_u32 s5, s3, s26
	s_add_i32 s8, s8, s2
	s_add_i32 s2, s5, s4
	s_mul_i32 s4, s8, s26
	s_mul_i32 s10, s3, s26
	s_add_i32 s9, s2, s4
                                        ; implicit-def: $vgpr0_vgpr1
	s_mov_b32 s2, exec_lo
	v_or_b32_e32 v3, s9, v5
	s_delay_alu instid0(VALU_DEP_1)
	v_cmpx_ne_u64_e32 0, v[2:3]
	s_xor_b32 s11, exec_lo, s2
	s_cbranch_execz .LBB30_3
; %bb.2:
	s_ashr_i32 s4, s9, 31
	s_delay_alu instid0(SALU_CYCLE_1) | instskip(SKIP_2) | instid1(SALU_CYCLE_1)
	s_add_u32 s6, s10, s4
	s_mov_b32 s5, s4
	s_addc_u32 s7, s9, s4
	s_xor_b64 s[6:7], s[6:7], s[4:5]
	s_delay_alu instid0(SALU_CYCLE_1) | instskip(SKIP_3) | instid1(VALU_DEP_1)
	v_cvt_f32_u32_e32 v0, s6
	v_cvt_f32_u32_e32 v1, s7
	s_sub_u32 s2, 0, s6
	s_subb_u32 s5, 0, s7
	v_fmamk_f32 v0, v1, 0x4f800000, v0
	s_delay_alu instid0(VALU_DEP_1) | instskip(SKIP_2) | instid1(VALU_DEP_1)
	v_rcp_f32_e32 v0, v0
	s_waitcnt_depctr 0xfff
	v_mul_f32_e32 v0, 0x5f7ffffc, v0
	v_mul_f32_e32 v1, 0x2f800000, v0
	s_delay_alu instid0(VALU_DEP_1) | instskip(NEXT) | instid1(VALU_DEP_1)
	v_trunc_f32_e32 v1, v1
	v_fmamk_f32 v0, v1, 0xcf800000, v0
	v_cvt_u32_f32_e32 v1, v1
	s_delay_alu instid0(VALU_DEP_2) | instskip(NEXT) | instid1(VALU_DEP_2)
	v_cvt_u32_f32_e32 v0, v0
	v_mul_lo_u32 v2, s2, v1
	s_delay_alu instid0(VALU_DEP_2) | instskip(SKIP_1) | instid1(VALU_DEP_2)
	v_mul_hi_u32 v3, s2, v0
	v_mul_lo_u32 v6, s5, v0
	v_add_nc_u32_e32 v2, v3, v2
	v_mul_lo_u32 v3, s2, v0
	s_delay_alu instid0(VALU_DEP_2) | instskip(NEXT) | instid1(VALU_DEP_2)
	v_add_nc_u32_e32 v2, v2, v6
	v_mul_hi_u32 v6, v0, v3
	s_delay_alu instid0(VALU_DEP_2)
	v_mul_lo_u32 v7, v0, v2
	v_mul_hi_u32 v8, v0, v2
	v_mul_hi_u32 v9, v1, v3
	v_mul_lo_u32 v3, v1, v3
	v_mul_hi_u32 v11, v1, v2
	v_mul_lo_u32 v2, v1, v2
	v_add_co_u32 v6, vcc_lo, v6, v7
	v_add_co_ci_u32_e32 v7, vcc_lo, 0, v8, vcc_lo
	s_delay_alu instid0(VALU_DEP_2) | instskip(NEXT) | instid1(VALU_DEP_2)
	v_add_co_u32 v3, vcc_lo, v6, v3
	v_add_co_ci_u32_e32 v3, vcc_lo, v7, v9, vcc_lo
	v_add_co_ci_u32_e32 v6, vcc_lo, 0, v11, vcc_lo
	s_delay_alu instid0(VALU_DEP_2) | instskip(NEXT) | instid1(VALU_DEP_2)
	v_add_co_u32 v2, vcc_lo, v3, v2
	v_add_co_ci_u32_e32 v3, vcc_lo, 0, v6, vcc_lo
	s_delay_alu instid0(VALU_DEP_2) | instskip(NEXT) | instid1(VALU_DEP_2)
	v_add_co_u32 v0, vcc_lo, v0, v2
	v_add_co_ci_u32_e32 v1, vcc_lo, v1, v3, vcc_lo
	s_delay_alu instid0(VALU_DEP_2) | instskip(SKIP_1) | instid1(VALU_DEP_3)
	v_mul_hi_u32 v2, s2, v0
	v_mul_lo_u32 v6, s5, v0
	v_mul_lo_u32 v3, s2, v1
	s_delay_alu instid0(VALU_DEP_1) | instskip(SKIP_1) | instid1(VALU_DEP_2)
	v_add_nc_u32_e32 v2, v2, v3
	v_mul_lo_u32 v3, s2, v0
	v_add_nc_u32_e32 v2, v2, v6
	s_delay_alu instid0(VALU_DEP_2) | instskip(NEXT) | instid1(VALU_DEP_2)
	v_mul_hi_u32 v6, v0, v3
	v_mul_lo_u32 v7, v0, v2
	v_mul_hi_u32 v8, v0, v2
	v_mul_hi_u32 v9, v1, v3
	v_mul_lo_u32 v3, v1, v3
	v_mul_hi_u32 v11, v1, v2
	v_mul_lo_u32 v2, v1, v2
	v_add_co_u32 v6, vcc_lo, v6, v7
	v_add_co_ci_u32_e32 v7, vcc_lo, 0, v8, vcc_lo
	s_delay_alu instid0(VALU_DEP_2) | instskip(NEXT) | instid1(VALU_DEP_2)
	v_add_co_u32 v3, vcc_lo, v6, v3
	v_add_co_ci_u32_e32 v3, vcc_lo, v7, v9, vcc_lo
	v_add_co_ci_u32_e32 v6, vcc_lo, 0, v11, vcc_lo
	v_add_co_u32 v7, vcc_lo, v4, v10
	v_add_co_ci_u32_e32 v8, vcc_lo, v5, v10, vcc_lo
	s_delay_alu instid0(VALU_DEP_4) | instskip(NEXT) | instid1(VALU_DEP_4)
	v_add_co_u32 v2, vcc_lo, v3, v2
	v_add_co_ci_u32_e32 v3, vcc_lo, 0, v6, vcc_lo
	s_delay_alu instid0(VALU_DEP_4) | instskip(NEXT) | instid1(VALU_DEP_3)
	v_xor_b32_e32 v9, v7, v10
	v_add_co_u32 v6, vcc_lo, v0, v2
	s_delay_alu instid0(VALU_DEP_3) | instskip(SKIP_1) | instid1(VALU_DEP_3)
	v_add_co_ci_u32_e32 v11, vcc_lo, v1, v3, vcc_lo
	v_xor_b32_e32 v8, v8, v10
	v_mul_hi_u32 v12, v9, v6
	s_delay_alu instid0(VALU_DEP_3) | instskip(NEXT) | instid1(VALU_DEP_3)
	v_mad_u64_u32 v[0:1], null, v9, v11, 0
	v_mad_u64_u32 v[2:3], null, v8, v6, 0
	;; [unrolled: 1-line block ×3, first 2 shown]
	s_delay_alu instid0(VALU_DEP_3) | instskip(NEXT) | instid1(VALU_DEP_4)
	v_add_co_u32 v0, vcc_lo, v12, v0
	v_add_co_ci_u32_e32 v1, vcc_lo, 0, v1, vcc_lo
	s_delay_alu instid0(VALU_DEP_2) | instskip(NEXT) | instid1(VALU_DEP_2)
	v_add_co_u32 v0, vcc_lo, v0, v2
	v_add_co_ci_u32_e32 v0, vcc_lo, v1, v3, vcc_lo
	v_add_co_ci_u32_e32 v1, vcc_lo, 0, v7, vcc_lo
	s_delay_alu instid0(VALU_DEP_2) | instskip(NEXT) | instid1(VALU_DEP_2)
	v_add_co_u32 v2, vcc_lo, v0, v6
	v_add_co_ci_u32_e32 v3, vcc_lo, 0, v1, vcc_lo
	s_delay_alu instid0(VALU_DEP_2) | instskip(SKIP_1) | instid1(VALU_DEP_3)
	v_mul_lo_u32 v6, s7, v2
	v_mad_u64_u32 v[0:1], null, s6, v2, 0
	v_mul_lo_u32 v7, s6, v3
	s_delay_alu instid0(VALU_DEP_2) | instskip(NEXT) | instid1(VALU_DEP_2)
	v_sub_co_u32 v0, vcc_lo, v9, v0
	v_add3_u32 v1, v1, v7, v6
	s_delay_alu instid0(VALU_DEP_1) | instskip(NEXT) | instid1(VALU_DEP_1)
	v_sub_nc_u32_e32 v6, v8, v1
	v_subrev_co_ci_u32_e64 v6, s2, s7, v6, vcc_lo
	v_add_co_u32 v7, s2, v2, 2
	s_delay_alu instid0(VALU_DEP_1) | instskip(SKIP_3) | instid1(VALU_DEP_3)
	v_add_co_ci_u32_e64 v9, s2, 0, v3, s2
	v_sub_co_u32 v11, s2, v0, s6
	v_sub_co_ci_u32_e32 v1, vcc_lo, v8, v1, vcc_lo
	v_subrev_co_ci_u32_e64 v6, s2, 0, v6, s2
	v_cmp_le_u32_e32 vcc_lo, s6, v11
	s_delay_alu instid0(VALU_DEP_3) | instskip(SKIP_1) | instid1(VALU_DEP_4)
	v_cmp_eq_u32_e64 s2, s7, v1
	v_cndmask_b32_e64 v8, 0, -1, vcc_lo
	v_cmp_le_u32_e32 vcc_lo, s7, v6
	v_cndmask_b32_e64 v11, 0, -1, vcc_lo
	v_cmp_le_u32_e32 vcc_lo, s6, v0
	v_cndmask_b32_e64 v0, 0, -1, vcc_lo
	v_cmp_le_u32_e32 vcc_lo, s7, v1
	v_cndmask_b32_e64 v12, 0, -1, vcc_lo
	v_cmp_eq_u32_e32 vcc_lo, s7, v6
	s_delay_alu instid0(VALU_DEP_2) | instskip(SKIP_3) | instid1(VALU_DEP_3)
	v_cndmask_b32_e64 v0, v12, v0, s2
	v_cndmask_b32_e32 v6, v11, v8, vcc_lo
	v_add_co_u32 v8, vcc_lo, v2, 1
	v_add_co_ci_u32_e32 v11, vcc_lo, 0, v3, vcc_lo
	v_cmp_ne_u32_e32 vcc_lo, 0, v6
	s_delay_alu instid0(VALU_DEP_2) | instskip(SKIP_2) | instid1(VALU_DEP_3)
	v_dual_cndmask_b32 v1, v11, v9 :: v_dual_cndmask_b32 v6, v8, v7
	v_cmp_ne_u32_e32 vcc_lo, 0, v0
	v_xor_b32_e32 v7, s4, v10
	v_dual_cndmask_b32 v0, v3, v1 :: v_dual_cndmask_b32 v1, v2, v6
	s_delay_alu instid0(VALU_DEP_1) | instskip(NEXT) | instid1(VALU_DEP_2)
	v_xor_b32_e32 v2, v0, v7
	v_xor_b32_e32 v1, v1, v7
	s_delay_alu instid0(VALU_DEP_1) | instskip(NEXT) | instid1(VALU_DEP_3)
	v_sub_co_u32 v0, vcc_lo, v1, v7
	v_sub_co_ci_u32_e32 v1, vcc_lo, v2, v7, vcc_lo
.LBB30_3:
	s_and_not1_saveexec_b32 s2, s11
	s_cbranch_execz .LBB30_5
; %bb.4:
	v_cvt_f32_u32_e32 v0, s10
	s_sub_i32 s4, 0, s10
	s_delay_alu instid0(VALU_DEP_1) | instskip(SKIP_2) | instid1(VALU_DEP_1)
	v_rcp_iflag_f32_e32 v0, v0
	s_waitcnt_depctr 0xfff
	v_mul_f32_e32 v0, 0x4f7ffffe, v0
	v_cvt_u32_f32_e32 v0, v0
	s_delay_alu instid0(VALU_DEP_1) | instskip(NEXT) | instid1(VALU_DEP_1)
	v_mul_lo_u32 v1, s4, v0
	v_mul_hi_u32 v1, v0, v1
	s_delay_alu instid0(VALU_DEP_1) | instskip(NEXT) | instid1(VALU_DEP_1)
	v_add_nc_u32_e32 v0, v0, v1
	v_mul_hi_u32 v0, v4, v0
	s_delay_alu instid0(VALU_DEP_1) | instskip(SKIP_1) | instid1(VALU_DEP_2)
	v_mul_lo_u32 v1, v0, s10
	v_add_nc_u32_e32 v2, 1, v0
	v_sub_nc_u32_e32 v1, v4, v1
	s_delay_alu instid0(VALU_DEP_1) | instskip(SKIP_1) | instid1(VALU_DEP_2)
	v_subrev_nc_u32_e32 v3, s10, v1
	v_cmp_le_u32_e32 vcc_lo, s10, v1
	v_dual_cndmask_b32 v1, v1, v3 :: v_dual_cndmask_b32 v0, v0, v2
	s_delay_alu instid0(VALU_DEP_1) | instskip(NEXT) | instid1(VALU_DEP_2)
	v_cmp_le_u32_e32 vcc_lo, s10, v1
	v_dual_mov_b32 v1, 0 :: v_dual_add_nc_u32 v2, 1, v0
	s_delay_alu instid0(VALU_DEP_1)
	v_cndmask_b32_e32 v0, v0, v2, vcc_lo
.LBB30_5:
	s_or_b32 exec_lo, exec_lo, s2
	s_delay_alu instid0(VALU_DEP_1) | instskip(NEXT) | instid1(VALU_DEP_2)
	v_mul_lo_u32 v6, s9, v0
	v_mul_lo_u32 v7, s10, v1
	v_mad_u64_u32 v[2:3], null, s10, v0, 0
	s_delay_alu instid0(VALU_DEP_1) | instskip(NEXT) | instid1(VALU_DEP_2)
	v_add3_u32 v3, v3, v7, v6
	v_sub_co_u32 v6, vcc_lo, v4, v2
	v_mov_b32_e32 v2, 0
	s_delay_alu instid0(VALU_DEP_3) | instskip(NEXT) | instid1(VALU_DEP_1)
	v_sub_co_ci_u32_e32 v7, vcc_lo, v5, v3, vcc_lo
	v_or_b32_e32 v3, s8, v7
	s_delay_alu instid0(VALU_DEP_1) | instskip(SKIP_1) | instid1(SALU_CYCLE_1)
	v_cmp_ne_u64_e32 vcc_lo, 0, v[2:3]
                                        ; implicit-def: $vgpr2_vgpr3
	s_and_saveexec_b32 s2, vcc_lo
	s_xor_b32 s9, exec_lo, s2
	s_cbranch_execz .LBB30_7
; %bb.6:
	s_ashr_i32 s4, s8, 31
	s_delay_alu instid0(SALU_CYCLE_1) | instskip(SKIP_2) | instid1(SALU_CYCLE_1)
	s_add_u32 s6, s3, s4
	s_mov_b32 s5, s4
	s_addc_u32 s7, s8, s4
	s_xor_b64 s[6:7], s[6:7], s[4:5]
	s_delay_alu instid0(SALU_CYCLE_1) | instskip(SKIP_3) | instid1(VALU_DEP_1)
	v_cvt_f32_u32_e32 v2, s6
	v_cvt_f32_u32_e32 v3, s7
	s_sub_u32 s2, 0, s6
	s_subb_u32 s5, 0, s7
	v_fmamk_f32 v2, v3, 0x4f800000, v2
	s_delay_alu instid0(VALU_DEP_1) | instskip(SKIP_2) | instid1(VALU_DEP_1)
	v_rcp_f32_e32 v2, v2
	s_waitcnt_depctr 0xfff
	v_mul_f32_e32 v2, 0x5f7ffffc, v2
	v_mul_f32_e32 v3, 0x2f800000, v2
	s_delay_alu instid0(VALU_DEP_1) | instskip(NEXT) | instid1(VALU_DEP_1)
	v_trunc_f32_e32 v3, v3
	v_fmamk_f32 v2, v3, 0xcf800000, v2
	v_cvt_u32_f32_e32 v3, v3
	s_delay_alu instid0(VALU_DEP_2) | instskip(NEXT) | instid1(VALU_DEP_2)
	v_cvt_u32_f32_e32 v2, v2
	v_mul_lo_u32 v8, s2, v3
	s_delay_alu instid0(VALU_DEP_2) | instskip(SKIP_1) | instid1(VALU_DEP_2)
	v_mul_hi_u32 v9, s2, v2
	v_mul_lo_u32 v11, s5, v2
	v_add_nc_u32_e32 v8, v9, v8
	v_mul_lo_u32 v9, s2, v2
	s_delay_alu instid0(VALU_DEP_2) | instskip(NEXT) | instid1(VALU_DEP_2)
	v_add_nc_u32_e32 v8, v8, v11
	v_mul_hi_u32 v11, v2, v9
	s_delay_alu instid0(VALU_DEP_2)
	v_mul_lo_u32 v12, v2, v8
	v_mul_hi_u32 v13, v2, v8
	v_mul_hi_u32 v14, v3, v9
	v_mul_lo_u32 v9, v3, v9
	v_mul_hi_u32 v15, v3, v8
	v_mul_lo_u32 v8, v3, v8
	v_add_co_u32 v11, vcc_lo, v11, v12
	v_add_co_ci_u32_e32 v12, vcc_lo, 0, v13, vcc_lo
	s_delay_alu instid0(VALU_DEP_2) | instskip(NEXT) | instid1(VALU_DEP_2)
	v_add_co_u32 v9, vcc_lo, v11, v9
	v_add_co_ci_u32_e32 v9, vcc_lo, v12, v14, vcc_lo
	v_add_co_ci_u32_e32 v11, vcc_lo, 0, v15, vcc_lo
	v_ashrrev_i32_e32 v14, 31, v7
	s_delay_alu instid0(VALU_DEP_3) | instskip(NEXT) | instid1(VALU_DEP_3)
	v_add_co_u32 v8, vcc_lo, v9, v8
	v_add_co_ci_u32_e32 v9, vcc_lo, 0, v11, vcc_lo
	s_delay_alu instid0(VALU_DEP_2) | instskip(NEXT) | instid1(VALU_DEP_2)
	v_add_co_u32 v2, vcc_lo, v2, v8
	v_add_co_ci_u32_e32 v3, vcc_lo, v3, v9, vcc_lo
	s_delay_alu instid0(VALU_DEP_2) | instskip(SKIP_1) | instid1(VALU_DEP_3)
	v_mul_hi_u32 v8, s2, v2
	v_mul_lo_u32 v11, s5, v2
	v_mul_lo_u32 v9, s2, v3
	s_delay_alu instid0(VALU_DEP_1) | instskip(SKIP_1) | instid1(VALU_DEP_2)
	v_add_nc_u32_e32 v8, v8, v9
	v_mul_lo_u32 v9, s2, v2
	v_add_nc_u32_e32 v8, v8, v11
	s_delay_alu instid0(VALU_DEP_2) | instskip(NEXT) | instid1(VALU_DEP_2)
	v_mul_hi_u32 v11, v2, v9
	v_mul_lo_u32 v12, v2, v8
	v_mul_hi_u32 v13, v2, v8
	v_mul_hi_u32 v15, v3, v9
	v_mul_lo_u32 v9, v3, v9
	v_mul_hi_u32 v16, v3, v8
	v_mul_lo_u32 v8, v3, v8
	v_add_co_u32 v11, vcc_lo, v11, v12
	v_add_co_ci_u32_e32 v12, vcc_lo, 0, v13, vcc_lo
	s_delay_alu instid0(VALU_DEP_2) | instskip(NEXT) | instid1(VALU_DEP_2)
	v_add_co_u32 v9, vcc_lo, v11, v9
	v_add_co_ci_u32_e32 v9, vcc_lo, v12, v15, vcc_lo
	v_add_co_ci_u32_e32 v11, vcc_lo, 0, v16, vcc_lo
	v_add_co_u32 v12, vcc_lo, v6, v14
	v_add_co_ci_u32_e32 v13, vcc_lo, v7, v14, vcc_lo
	s_delay_alu instid0(VALU_DEP_4) | instskip(NEXT) | instid1(VALU_DEP_4)
	v_add_co_u32 v8, vcc_lo, v9, v8
	v_add_co_ci_u32_e32 v9, vcc_lo, 0, v11, vcc_lo
	s_delay_alu instid0(VALU_DEP_4) | instskip(NEXT) | instid1(VALU_DEP_3)
	v_xor_b32_e32 v15, v12, v14
	v_add_co_u32 v11, vcc_lo, v2, v8
	s_delay_alu instid0(VALU_DEP_3) | instskip(SKIP_1) | instid1(VALU_DEP_3)
	v_add_co_ci_u32_e32 v16, vcc_lo, v3, v9, vcc_lo
	v_xor_b32_e32 v13, v13, v14
	v_mul_hi_u32 v17, v15, v11
	s_delay_alu instid0(VALU_DEP_3) | instskip(NEXT) | instid1(VALU_DEP_3)
	v_mad_u64_u32 v[2:3], null, v15, v16, 0
	v_mad_u64_u32 v[8:9], null, v13, v11, 0
	;; [unrolled: 1-line block ×3, first 2 shown]
	s_delay_alu instid0(VALU_DEP_3) | instskip(NEXT) | instid1(VALU_DEP_4)
	v_add_co_u32 v2, vcc_lo, v17, v2
	v_add_co_ci_u32_e32 v3, vcc_lo, 0, v3, vcc_lo
	s_delay_alu instid0(VALU_DEP_2) | instskip(NEXT) | instid1(VALU_DEP_2)
	v_add_co_u32 v2, vcc_lo, v2, v8
	v_add_co_ci_u32_e32 v2, vcc_lo, v3, v9, vcc_lo
	v_add_co_ci_u32_e32 v3, vcc_lo, 0, v12, vcc_lo
	s_delay_alu instid0(VALU_DEP_2) | instskip(NEXT) | instid1(VALU_DEP_2)
	v_add_co_u32 v8, vcc_lo, v2, v11
	v_add_co_ci_u32_e32 v9, vcc_lo, 0, v3, vcc_lo
	s_delay_alu instid0(VALU_DEP_2) | instskip(SKIP_1) | instid1(VALU_DEP_3)
	v_mul_lo_u32 v11, s7, v8
	v_mad_u64_u32 v[2:3], null, s6, v8, 0
	v_mul_lo_u32 v12, s6, v9
	s_delay_alu instid0(VALU_DEP_2) | instskip(NEXT) | instid1(VALU_DEP_2)
	v_sub_co_u32 v2, vcc_lo, v15, v2
	v_add3_u32 v3, v3, v12, v11
	s_delay_alu instid0(VALU_DEP_1) | instskip(NEXT) | instid1(VALU_DEP_1)
	v_sub_nc_u32_e32 v11, v13, v3
	v_subrev_co_ci_u32_e64 v11, s2, s7, v11, vcc_lo
	v_add_co_u32 v12, s2, v8, 2
	s_delay_alu instid0(VALU_DEP_1) | instskip(SKIP_3) | instid1(VALU_DEP_3)
	v_add_co_ci_u32_e64 v15, s2, 0, v9, s2
	v_sub_co_u32 v16, s2, v2, s6
	v_sub_co_ci_u32_e32 v3, vcc_lo, v13, v3, vcc_lo
	v_subrev_co_ci_u32_e64 v11, s2, 0, v11, s2
	v_cmp_le_u32_e32 vcc_lo, s6, v16
	s_delay_alu instid0(VALU_DEP_3) | instskip(SKIP_1) | instid1(VALU_DEP_4)
	v_cmp_eq_u32_e64 s2, s7, v3
	v_cndmask_b32_e64 v13, 0, -1, vcc_lo
	v_cmp_le_u32_e32 vcc_lo, s7, v11
	v_cndmask_b32_e64 v16, 0, -1, vcc_lo
	v_cmp_le_u32_e32 vcc_lo, s6, v2
	;; [unrolled: 2-line block ×3, first 2 shown]
	v_cndmask_b32_e64 v17, 0, -1, vcc_lo
	v_cmp_eq_u32_e32 vcc_lo, s7, v11
	s_delay_alu instid0(VALU_DEP_2) | instskip(SKIP_3) | instid1(VALU_DEP_3)
	v_cndmask_b32_e64 v2, v17, v2, s2
	v_cndmask_b32_e32 v11, v16, v13, vcc_lo
	v_add_co_u32 v13, vcc_lo, v8, 1
	v_add_co_ci_u32_e32 v16, vcc_lo, 0, v9, vcc_lo
	v_cmp_ne_u32_e32 vcc_lo, 0, v11
	s_delay_alu instid0(VALU_DEP_3) | instskip(NEXT) | instid1(VALU_DEP_3)
	v_cndmask_b32_e32 v11, v13, v12, vcc_lo
	v_cndmask_b32_e32 v3, v16, v15, vcc_lo
	v_cmp_ne_u32_e32 vcc_lo, 0, v2
	v_xor_b32_e32 v12, s4, v14
	s_delay_alu instid0(VALU_DEP_3) | instskip(SKIP_1) | instid1(VALU_DEP_2)
	v_cndmask_b32_e32 v2, v9, v3, vcc_lo
	v_cndmask_b32_e32 v3, v8, v11, vcc_lo
	v_xor_b32_e32 v8, v2, v12
	s_delay_alu instid0(VALU_DEP_2) | instskip(NEXT) | instid1(VALU_DEP_1)
	v_xor_b32_e32 v3, v3, v12
	v_sub_co_u32 v2, vcc_lo, v3, v12
	s_delay_alu instid0(VALU_DEP_3)
	v_sub_co_ci_u32_e32 v3, vcc_lo, v8, v12, vcc_lo
.LBB30_7:
	s_and_not1_saveexec_b32 s2, s9
	s_cbranch_execz .LBB30_9
; %bb.8:
	v_cvt_f32_u32_e32 v2, s3
	s_sub_i32 s4, 0, s3
	s_delay_alu instid0(VALU_DEP_1) | instskip(SKIP_2) | instid1(VALU_DEP_1)
	v_rcp_iflag_f32_e32 v2, v2
	s_waitcnt_depctr 0xfff
	v_mul_f32_e32 v2, 0x4f7ffffe, v2
	v_cvt_u32_f32_e32 v2, v2
	s_delay_alu instid0(VALU_DEP_1) | instskip(NEXT) | instid1(VALU_DEP_1)
	v_mul_lo_u32 v3, s4, v2
	v_mul_hi_u32 v3, v2, v3
	s_delay_alu instid0(VALU_DEP_1) | instskip(NEXT) | instid1(VALU_DEP_1)
	v_add_nc_u32_e32 v2, v2, v3
	v_mul_hi_u32 v2, v6, v2
	s_delay_alu instid0(VALU_DEP_1) | instskip(SKIP_1) | instid1(VALU_DEP_2)
	v_mul_lo_u32 v3, v2, s3
	v_add_nc_u32_e32 v8, 1, v2
	v_sub_nc_u32_e32 v3, v6, v3
	s_delay_alu instid0(VALU_DEP_1) | instskip(SKIP_1) | instid1(VALU_DEP_2)
	v_subrev_nc_u32_e32 v9, s3, v3
	v_cmp_le_u32_e32 vcc_lo, s3, v3
	v_dual_cndmask_b32 v3, v3, v9 :: v_dual_cndmask_b32 v2, v2, v8
	s_delay_alu instid0(VALU_DEP_1) | instskip(NEXT) | instid1(VALU_DEP_2)
	v_cmp_le_u32_e32 vcc_lo, s3, v3
	v_dual_mov_b32 v3, 0 :: v_dual_add_nc_u32 v8, 1, v2
	s_delay_alu instid0(VALU_DEP_1)
	v_cndmask_b32_e32 v2, v2, v8, vcc_lo
.LBB30_9:
	s_or_b32 exec_lo, exec_lo, s2
	s_delay_alu instid0(VALU_DEP_1) | instskip(NEXT) | instid1(VALU_DEP_2)
	v_mul_lo_u32 v11, s8, v2
	v_mul_lo_u32 v12, s3, v3
	v_mad_u64_u32 v[8:9], null, s3, v2, 0
	s_delay_alu instid0(VALU_DEP_1) | instskip(NEXT) | instid1(VALU_DEP_2)
	v_add3_u32 v9, v9, v12, v11
	v_sub_co_u32 v12, vcc_lo, v6, v8
	v_mov_b32_e32 v6, 0
	s_delay_alu instid0(VALU_DEP_3) | instskip(NEXT) | instid1(VALU_DEP_1)
	v_sub_co_ci_u32_e32 v13, vcc_lo, v7, v9, vcc_lo
	v_or_b32_e32 v7, s23, v13
	s_delay_alu instid0(VALU_DEP_1) | instskip(SKIP_1) | instid1(SALU_CYCLE_1)
	v_cmp_ne_u64_e32 vcc_lo, 0, v[6:7]
                                        ; implicit-def: $vgpr6_vgpr7
	s_and_saveexec_b32 s2, vcc_lo
	s_xor_b32 s3, exec_lo, s2
	s_cbranch_execz .LBB30_11
; %bb.10:
	s_ashr_i32 s4, s23, 31
	s_delay_alu instid0(SALU_CYCLE_1) | instskip(SKIP_2) | instid1(SALU_CYCLE_1)
	s_add_u32 s6, s22, s4
	s_mov_b32 s5, s4
	s_addc_u32 s7, s23, s4
	s_xor_b64 s[6:7], s[6:7], s[4:5]
	s_delay_alu instid0(SALU_CYCLE_1) | instskip(SKIP_3) | instid1(VALU_DEP_1)
	v_cvt_f32_u32_e32 v6, s6
	v_cvt_f32_u32_e32 v7, s7
	s_sub_u32 s2, 0, s6
	s_subb_u32 s5, 0, s7
	v_fmamk_f32 v6, v7, 0x4f800000, v6
	s_delay_alu instid0(VALU_DEP_1) | instskip(SKIP_2) | instid1(VALU_DEP_1)
	v_rcp_f32_e32 v6, v6
	s_waitcnt_depctr 0xfff
	v_mul_f32_e32 v6, 0x5f7ffffc, v6
	v_mul_f32_e32 v7, 0x2f800000, v6
	s_delay_alu instid0(VALU_DEP_1) | instskip(NEXT) | instid1(VALU_DEP_1)
	v_trunc_f32_e32 v7, v7
	v_fmamk_f32 v6, v7, 0xcf800000, v6
	v_cvt_u32_f32_e32 v7, v7
	s_delay_alu instid0(VALU_DEP_2) | instskip(NEXT) | instid1(VALU_DEP_2)
	v_cvt_u32_f32_e32 v6, v6
	v_mul_lo_u32 v8, s2, v7
	s_delay_alu instid0(VALU_DEP_2) | instskip(SKIP_1) | instid1(VALU_DEP_2)
	v_mul_hi_u32 v9, s2, v6
	v_mul_lo_u32 v11, s5, v6
	v_add_nc_u32_e32 v8, v9, v8
	v_mul_lo_u32 v9, s2, v6
	s_delay_alu instid0(VALU_DEP_2) | instskip(NEXT) | instid1(VALU_DEP_2)
	v_add_nc_u32_e32 v8, v8, v11
	v_mul_hi_u32 v11, v6, v9
	s_delay_alu instid0(VALU_DEP_2)
	v_mul_lo_u32 v14, v6, v8
	v_mul_hi_u32 v15, v6, v8
	v_mul_hi_u32 v16, v7, v9
	v_mul_lo_u32 v9, v7, v9
	v_mul_hi_u32 v17, v7, v8
	v_mul_lo_u32 v8, v7, v8
	v_add_co_u32 v11, vcc_lo, v11, v14
	v_add_co_ci_u32_e32 v14, vcc_lo, 0, v15, vcc_lo
	s_delay_alu instid0(VALU_DEP_2) | instskip(NEXT) | instid1(VALU_DEP_2)
	v_add_co_u32 v9, vcc_lo, v11, v9
	v_add_co_ci_u32_e32 v9, vcc_lo, v14, v16, vcc_lo
	v_add_co_ci_u32_e32 v11, vcc_lo, 0, v17, vcc_lo
	v_ashrrev_i32_e32 v16, 31, v13
	s_delay_alu instid0(VALU_DEP_3) | instskip(NEXT) | instid1(VALU_DEP_3)
	v_add_co_u32 v8, vcc_lo, v9, v8
	v_add_co_ci_u32_e32 v9, vcc_lo, 0, v11, vcc_lo
	s_delay_alu instid0(VALU_DEP_2) | instskip(NEXT) | instid1(VALU_DEP_2)
	v_add_co_u32 v6, vcc_lo, v6, v8
	v_add_co_ci_u32_e32 v7, vcc_lo, v7, v9, vcc_lo
	s_delay_alu instid0(VALU_DEP_2) | instskip(SKIP_1) | instid1(VALU_DEP_3)
	v_mul_hi_u32 v8, s2, v6
	v_mul_lo_u32 v11, s5, v6
	v_mul_lo_u32 v9, s2, v7
	s_delay_alu instid0(VALU_DEP_1) | instskip(SKIP_1) | instid1(VALU_DEP_2)
	v_add_nc_u32_e32 v8, v8, v9
	v_mul_lo_u32 v9, s2, v6
	v_add_nc_u32_e32 v8, v8, v11
	s_delay_alu instid0(VALU_DEP_2) | instskip(NEXT) | instid1(VALU_DEP_2)
	v_mul_hi_u32 v11, v6, v9
	v_mul_lo_u32 v14, v6, v8
	v_mul_hi_u32 v15, v6, v8
	v_mul_hi_u32 v17, v7, v9
	v_mul_lo_u32 v9, v7, v9
	v_mul_hi_u32 v18, v7, v8
	v_mul_lo_u32 v8, v7, v8
	v_add_co_u32 v11, vcc_lo, v11, v14
	v_add_co_ci_u32_e32 v14, vcc_lo, 0, v15, vcc_lo
	s_delay_alu instid0(VALU_DEP_2) | instskip(NEXT) | instid1(VALU_DEP_2)
	v_add_co_u32 v9, vcc_lo, v11, v9
	v_add_co_ci_u32_e32 v9, vcc_lo, v14, v17, vcc_lo
	v_add_co_ci_u32_e32 v11, vcc_lo, 0, v18, vcc_lo
	v_add_co_u32 v14, vcc_lo, v12, v16
	v_add_co_ci_u32_e32 v15, vcc_lo, v13, v16, vcc_lo
	s_delay_alu instid0(VALU_DEP_4) | instskip(NEXT) | instid1(VALU_DEP_4)
	v_add_co_u32 v8, vcc_lo, v9, v8
	v_add_co_ci_u32_e32 v9, vcc_lo, 0, v11, vcc_lo
	s_delay_alu instid0(VALU_DEP_4) | instskip(NEXT) | instid1(VALU_DEP_3)
	v_xor_b32_e32 v11, v14, v16
	v_add_co_u32 v14, vcc_lo, v6, v8
	s_delay_alu instid0(VALU_DEP_3) | instskip(SKIP_1) | instid1(VALU_DEP_3)
	v_add_co_ci_u32_e32 v17, vcc_lo, v7, v9, vcc_lo
	v_xor_b32_e32 v18, v15, v16
	v_mul_hi_u32 v19, v11, v14
	s_delay_alu instid0(VALU_DEP_3) | instskip(NEXT) | instid1(VALU_DEP_3)
	v_mad_u64_u32 v[6:7], null, v11, v17, 0
	v_mad_u64_u32 v[8:9], null, v18, v14, 0
	;; [unrolled: 1-line block ×3, first 2 shown]
	s_delay_alu instid0(VALU_DEP_3) | instskip(NEXT) | instid1(VALU_DEP_4)
	v_add_co_u32 v6, vcc_lo, v19, v6
	v_add_co_ci_u32_e32 v7, vcc_lo, 0, v7, vcc_lo
	s_delay_alu instid0(VALU_DEP_2) | instskip(NEXT) | instid1(VALU_DEP_2)
	v_add_co_u32 v6, vcc_lo, v6, v8
	v_add_co_ci_u32_e32 v6, vcc_lo, v7, v9, vcc_lo
	v_add_co_ci_u32_e32 v7, vcc_lo, 0, v15, vcc_lo
	s_delay_alu instid0(VALU_DEP_2) | instskip(NEXT) | instid1(VALU_DEP_2)
	v_add_co_u32 v8, vcc_lo, v6, v14
	v_add_co_ci_u32_e32 v9, vcc_lo, 0, v7, vcc_lo
	s_delay_alu instid0(VALU_DEP_2) | instskip(SKIP_1) | instid1(VALU_DEP_3)
	v_mul_lo_u32 v14, s7, v8
	v_mad_u64_u32 v[6:7], null, s6, v8, 0
	v_mul_lo_u32 v15, s6, v9
	s_delay_alu instid0(VALU_DEP_2) | instskip(NEXT) | instid1(VALU_DEP_2)
	v_sub_co_u32 v6, vcc_lo, v11, v6
	v_add3_u32 v7, v7, v15, v14
	s_delay_alu instid0(VALU_DEP_1) | instskip(NEXT) | instid1(VALU_DEP_1)
	v_sub_nc_u32_e32 v14, v18, v7
	v_subrev_co_ci_u32_e64 v11, s2, s7, v14, vcc_lo
	v_add_co_u32 v14, s2, v8, 2
	s_delay_alu instid0(VALU_DEP_1) | instskip(SKIP_3) | instid1(VALU_DEP_3)
	v_add_co_ci_u32_e64 v15, s2, 0, v9, s2
	v_sub_co_u32 v17, s2, v6, s6
	v_sub_co_ci_u32_e32 v7, vcc_lo, v18, v7, vcc_lo
	v_subrev_co_ci_u32_e64 v11, s2, 0, v11, s2
	v_cmp_le_u32_e32 vcc_lo, s6, v17
	s_delay_alu instid0(VALU_DEP_3) | instskip(SKIP_1) | instid1(VALU_DEP_4)
	v_cmp_eq_u32_e64 s2, s7, v7
	v_cndmask_b32_e64 v17, 0, -1, vcc_lo
	v_cmp_le_u32_e32 vcc_lo, s7, v11
	v_cndmask_b32_e64 v18, 0, -1, vcc_lo
	v_cmp_le_u32_e32 vcc_lo, s6, v6
	;; [unrolled: 2-line block ×3, first 2 shown]
	v_cndmask_b32_e64 v19, 0, -1, vcc_lo
	v_cmp_eq_u32_e32 vcc_lo, s7, v11
	s_delay_alu instid0(VALU_DEP_2) | instskip(SKIP_3) | instid1(VALU_DEP_3)
	v_cndmask_b32_e64 v6, v19, v6, s2
	v_cndmask_b32_e32 v11, v18, v17, vcc_lo
	v_add_co_u32 v17, vcc_lo, v8, 1
	v_add_co_ci_u32_e32 v18, vcc_lo, 0, v9, vcc_lo
	v_cmp_ne_u32_e32 vcc_lo, 0, v11
	s_delay_alu instid0(VALU_DEP_3) | instskip(NEXT) | instid1(VALU_DEP_3)
	v_cndmask_b32_e32 v11, v17, v14, vcc_lo
	v_cndmask_b32_e32 v7, v18, v15, vcc_lo
	v_cmp_ne_u32_e32 vcc_lo, 0, v6
	v_xor_b32_e32 v14, s4, v16
	s_delay_alu instid0(VALU_DEP_3) | instskip(SKIP_1) | instid1(VALU_DEP_2)
	v_cndmask_b32_e32 v6, v9, v7, vcc_lo
	v_cndmask_b32_e32 v7, v8, v11, vcc_lo
	v_xor_b32_e32 v8, v6, v14
	s_delay_alu instid0(VALU_DEP_2) | instskip(NEXT) | instid1(VALU_DEP_1)
	v_xor_b32_e32 v7, v7, v14
	v_sub_co_u32 v6, vcc_lo, v7, v14
	s_delay_alu instid0(VALU_DEP_3)
	v_sub_co_ci_u32_e32 v7, vcc_lo, v8, v14, vcc_lo
.LBB30_11:
	s_and_not1_saveexec_b32 s2, s3
	s_cbranch_execz .LBB30_13
; %bb.12:
	v_cvt_f32_u32_e32 v6, s22
	s_sub_i32 s3, 0, s22
	s_delay_alu instid0(VALU_DEP_1) | instskip(SKIP_2) | instid1(VALU_DEP_1)
	v_rcp_iflag_f32_e32 v6, v6
	s_waitcnt_depctr 0xfff
	v_mul_f32_e32 v6, 0x4f7ffffe, v6
	v_cvt_u32_f32_e32 v6, v6
	s_delay_alu instid0(VALU_DEP_1) | instskip(NEXT) | instid1(VALU_DEP_1)
	v_mul_lo_u32 v7, s3, v6
	v_mul_hi_u32 v7, v6, v7
	s_delay_alu instid0(VALU_DEP_1) | instskip(NEXT) | instid1(VALU_DEP_1)
	v_add_nc_u32_e32 v6, v6, v7
	v_mul_hi_u32 v6, v12, v6
	s_delay_alu instid0(VALU_DEP_1) | instskip(SKIP_1) | instid1(VALU_DEP_2)
	v_mul_lo_u32 v7, v6, s22
	v_add_nc_u32_e32 v8, 1, v6
	v_sub_nc_u32_e32 v7, v12, v7
	s_delay_alu instid0(VALU_DEP_1) | instskip(SKIP_1) | instid1(VALU_DEP_2)
	v_subrev_nc_u32_e32 v9, s22, v7
	v_cmp_le_u32_e32 vcc_lo, s22, v7
	v_dual_cndmask_b32 v7, v7, v9 :: v_dual_cndmask_b32 v6, v6, v8
	s_delay_alu instid0(VALU_DEP_1) | instskip(NEXT) | instid1(VALU_DEP_2)
	v_cmp_le_u32_e32 vcc_lo, s22, v7
	v_dual_mov_b32 v7, 0 :: v_dual_add_nc_u32 v8, 1, v6
	s_delay_alu instid0(VALU_DEP_1)
	v_cndmask_b32_e32 v6, v6, v8, vcc_lo
.LBB30_13:
	s_or_b32 exec_lo, exec_lo, s2
	s_load_b512 s[36:51], s[0:1], 0x40
	v_mov_b32_e32 v8, 0
	s_waitcnt lgkmcnt(0)
	s_mul_i32 s2, s42, s41
	s_mul_hi_u32 s4, s42, s40
	s_mul_i32 s5, s43, s40
	s_mul_i32 s3, s42, s40
	s_add_i32 s8, s4, s2
	s_mul_i32 s2, s3, s45
	s_mul_hi_u32 s4, s3, s44
	s_add_i32 s8, s8, s5
	s_add_i32 s2, s4, s2
	s_mul_i32 s4, s8, s44
	s_mul_i32 s10, s3, s44
	s_add_i32 s9, s2, s4
	s_delay_alu instid0(SALU_CYCLE_1) | instskip(NEXT) | instid1(VALU_DEP_1)
	v_or_b32_e32 v9, s9, v5
	v_cmp_ne_u64_e32 vcc_lo, 0, v[8:9]
                                        ; implicit-def: $vgpr8_vgpr9
	s_and_saveexec_b32 s2, vcc_lo
	s_delay_alu instid0(SALU_CYCLE_1)
	s_xor_b32 s11, exec_lo, s2
	s_cbranch_execz .LBB30_15
; %bb.14:
	s_ashr_i32 s4, s9, 31
	s_delay_alu instid0(SALU_CYCLE_1) | instskip(SKIP_2) | instid1(SALU_CYCLE_1)
	s_add_u32 s6, s10, s4
	s_mov_b32 s5, s4
	s_addc_u32 s7, s9, s4
	s_xor_b64 s[6:7], s[6:7], s[4:5]
	s_delay_alu instid0(SALU_CYCLE_1) | instskip(SKIP_3) | instid1(VALU_DEP_1)
	v_cvt_f32_u32_e32 v8, s6
	v_cvt_f32_u32_e32 v9, s7
	s_sub_u32 s2, 0, s6
	s_subb_u32 s5, 0, s7
	v_fmamk_f32 v8, v9, 0x4f800000, v8
	s_delay_alu instid0(VALU_DEP_1) | instskip(SKIP_2) | instid1(VALU_DEP_1)
	v_rcp_f32_e32 v8, v8
	s_waitcnt_depctr 0xfff
	v_mul_f32_e32 v8, 0x5f7ffffc, v8
	v_mul_f32_e32 v9, 0x2f800000, v8
	s_delay_alu instid0(VALU_DEP_1) | instskip(NEXT) | instid1(VALU_DEP_1)
	v_trunc_f32_e32 v9, v9
	v_fmamk_f32 v8, v9, 0xcf800000, v8
	v_cvt_u32_f32_e32 v9, v9
	s_delay_alu instid0(VALU_DEP_2) | instskip(NEXT) | instid1(VALU_DEP_2)
	v_cvt_u32_f32_e32 v8, v8
	v_mul_lo_u32 v11, s2, v9
	s_delay_alu instid0(VALU_DEP_2) | instskip(SKIP_1) | instid1(VALU_DEP_2)
	v_mul_hi_u32 v14, s2, v8
	v_mul_lo_u32 v15, s5, v8
	v_add_nc_u32_e32 v11, v14, v11
	v_mul_lo_u32 v14, s2, v8
	s_delay_alu instid0(VALU_DEP_2) | instskip(NEXT) | instid1(VALU_DEP_2)
	v_add_nc_u32_e32 v11, v11, v15
	v_mul_hi_u32 v15, v8, v14
	s_delay_alu instid0(VALU_DEP_2)
	v_mul_lo_u32 v16, v8, v11
	v_mul_hi_u32 v17, v8, v11
	v_mul_hi_u32 v18, v9, v14
	v_mul_lo_u32 v14, v9, v14
	v_mul_hi_u32 v19, v9, v11
	v_mul_lo_u32 v11, v9, v11
	v_add_co_u32 v15, vcc_lo, v15, v16
	v_add_co_ci_u32_e32 v16, vcc_lo, 0, v17, vcc_lo
	s_delay_alu instid0(VALU_DEP_2) | instskip(NEXT) | instid1(VALU_DEP_2)
	v_add_co_u32 v14, vcc_lo, v15, v14
	v_add_co_ci_u32_e32 v14, vcc_lo, v16, v18, vcc_lo
	v_add_co_ci_u32_e32 v15, vcc_lo, 0, v19, vcc_lo
	s_delay_alu instid0(VALU_DEP_2) | instskip(NEXT) | instid1(VALU_DEP_2)
	v_add_co_u32 v11, vcc_lo, v14, v11
	v_add_co_ci_u32_e32 v14, vcc_lo, 0, v15, vcc_lo
	s_delay_alu instid0(VALU_DEP_2) | instskip(NEXT) | instid1(VALU_DEP_2)
	v_add_co_u32 v8, vcc_lo, v8, v11
	v_add_co_ci_u32_e32 v9, vcc_lo, v9, v14, vcc_lo
	s_delay_alu instid0(VALU_DEP_2) | instskip(SKIP_1) | instid1(VALU_DEP_3)
	v_mul_hi_u32 v11, s2, v8
	v_mul_lo_u32 v15, s5, v8
	v_mul_lo_u32 v14, s2, v9
	s_delay_alu instid0(VALU_DEP_1) | instskip(SKIP_1) | instid1(VALU_DEP_2)
	v_add_nc_u32_e32 v11, v11, v14
	v_mul_lo_u32 v14, s2, v8
	v_add_nc_u32_e32 v11, v11, v15
	s_delay_alu instid0(VALU_DEP_2) | instskip(NEXT) | instid1(VALU_DEP_2)
	v_mul_hi_u32 v15, v8, v14
	v_mul_lo_u32 v16, v8, v11
	v_mul_hi_u32 v17, v8, v11
	v_mul_hi_u32 v18, v9, v14
	v_mul_lo_u32 v14, v9, v14
	v_mul_hi_u32 v19, v9, v11
	v_mul_lo_u32 v11, v9, v11
	v_add_co_u32 v15, vcc_lo, v15, v16
	v_add_co_ci_u32_e32 v16, vcc_lo, 0, v17, vcc_lo
	s_delay_alu instid0(VALU_DEP_2) | instskip(NEXT) | instid1(VALU_DEP_2)
	v_add_co_u32 v14, vcc_lo, v15, v14
	v_add_co_ci_u32_e32 v14, vcc_lo, v16, v18, vcc_lo
	v_add_co_ci_u32_e32 v15, vcc_lo, 0, v19, vcc_lo
	v_add_co_u32 v16, vcc_lo, v4, v10
	v_add_co_ci_u32_e32 v17, vcc_lo, v5, v10, vcc_lo
	s_delay_alu instid0(VALU_DEP_4) | instskip(NEXT) | instid1(VALU_DEP_4)
	v_add_co_u32 v11, vcc_lo, v14, v11
	v_add_co_ci_u32_e32 v14, vcc_lo, 0, v15, vcc_lo
	s_delay_alu instid0(VALU_DEP_4) | instskip(NEXT) | instid1(VALU_DEP_3)
	v_xor_b32_e32 v18, v16, v10
	v_add_co_u32 v11, vcc_lo, v8, v11
	s_delay_alu instid0(VALU_DEP_3) | instskip(SKIP_1) | instid1(VALU_DEP_3)
	v_add_co_ci_u32_e32 v19, vcc_lo, v9, v14, vcc_lo
	v_xor_b32_e32 v20, v17, v10
	v_mul_hi_u32 v21, v18, v11
	v_xor_b32_e32 v10, s4, v10
	s_delay_alu instid0(VALU_DEP_4) | instskip(NEXT) | instid1(VALU_DEP_4)
	v_mad_u64_u32 v[8:9], null, v18, v19, 0
	v_mad_u64_u32 v[14:15], null, v20, v11, 0
	;; [unrolled: 1-line block ×3, first 2 shown]
	s_delay_alu instid0(VALU_DEP_3) | instskip(NEXT) | instid1(VALU_DEP_4)
	v_add_co_u32 v8, vcc_lo, v21, v8
	v_add_co_ci_u32_e32 v9, vcc_lo, 0, v9, vcc_lo
	s_delay_alu instid0(VALU_DEP_2) | instskip(NEXT) | instid1(VALU_DEP_2)
	v_add_co_u32 v8, vcc_lo, v8, v14
	v_add_co_ci_u32_e32 v8, vcc_lo, v9, v15, vcc_lo
	v_add_co_ci_u32_e32 v9, vcc_lo, 0, v17, vcc_lo
	s_delay_alu instid0(VALU_DEP_2) | instskip(NEXT) | instid1(VALU_DEP_2)
	v_add_co_u32 v11, vcc_lo, v8, v16
	v_add_co_ci_u32_e32 v14, vcc_lo, 0, v9, vcc_lo
	s_delay_alu instid0(VALU_DEP_2) | instskip(SKIP_1) | instid1(VALU_DEP_3)
	v_mul_lo_u32 v15, s7, v11
	v_mad_u64_u32 v[8:9], null, s6, v11, 0
	v_mul_lo_u32 v16, s6, v14
	s_delay_alu instid0(VALU_DEP_2) | instskip(NEXT) | instid1(VALU_DEP_2)
	v_sub_co_u32 v8, vcc_lo, v18, v8
	v_add3_u32 v9, v9, v16, v15
	s_delay_alu instid0(VALU_DEP_1) | instskip(NEXT) | instid1(VALU_DEP_1)
	v_sub_nc_u32_e32 v15, v20, v9
	v_subrev_co_ci_u32_e64 v15, s2, s7, v15, vcc_lo
	v_add_co_u32 v16, s2, v11, 2
	s_delay_alu instid0(VALU_DEP_1) | instskip(SKIP_3) | instid1(VALU_DEP_3)
	v_add_co_ci_u32_e64 v17, s2, 0, v14, s2
	v_sub_co_u32 v18, s2, v8, s6
	v_sub_co_ci_u32_e32 v9, vcc_lo, v20, v9, vcc_lo
	v_subrev_co_ci_u32_e64 v15, s2, 0, v15, s2
	v_cmp_le_u32_e32 vcc_lo, s6, v18
	s_delay_alu instid0(VALU_DEP_3) | instskip(SKIP_1) | instid1(VALU_DEP_4)
	v_cmp_eq_u32_e64 s2, s7, v9
	v_cndmask_b32_e64 v18, 0, -1, vcc_lo
	v_cmp_le_u32_e32 vcc_lo, s7, v15
	v_cndmask_b32_e64 v19, 0, -1, vcc_lo
	v_cmp_le_u32_e32 vcc_lo, s6, v8
	;; [unrolled: 2-line block ×3, first 2 shown]
	v_cndmask_b32_e64 v20, 0, -1, vcc_lo
	v_cmp_eq_u32_e32 vcc_lo, s7, v15
	s_delay_alu instid0(VALU_DEP_2) | instskip(SKIP_3) | instid1(VALU_DEP_3)
	v_cndmask_b32_e64 v8, v20, v8, s2
	v_cndmask_b32_e32 v15, v19, v18, vcc_lo
	v_add_co_u32 v18, vcc_lo, v11, 1
	v_add_co_ci_u32_e32 v19, vcc_lo, 0, v14, vcc_lo
	v_cmp_ne_u32_e32 vcc_lo, 0, v15
	s_delay_alu instid0(VALU_DEP_2) | instskip(NEXT) | instid1(VALU_DEP_4)
	v_cndmask_b32_e32 v9, v19, v17, vcc_lo
	v_cndmask_b32_e32 v15, v18, v16, vcc_lo
	v_cmp_ne_u32_e32 vcc_lo, 0, v8
	s_delay_alu instid0(VALU_DEP_2) | instskip(NEXT) | instid1(VALU_DEP_1)
	v_dual_cndmask_b32 v8, v14, v9 :: v_dual_cndmask_b32 v9, v11, v15
	v_xor_b32_e32 v11, v8, v10
	s_delay_alu instid0(VALU_DEP_2) | instskip(NEXT) | instid1(VALU_DEP_1)
	v_xor_b32_e32 v9, v9, v10
	v_sub_co_u32 v8, vcc_lo, v9, v10
	s_delay_alu instid0(VALU_DEP_3)
	v_sub_co_ci_u32_e32 v9, vcc_lo, v11, v10, vcc_lo
.LBB30_15:
	s_and_not1_saveexec_b32 s2, s11
	s_cbranch_execz .LBB30_17
; %bb.16:
	v_cvt_f32_u32_e32 v8, s10
	s_sub_i32 s4, 0, s10
	s_delay_alu instid0(VALU_DEP_1) | instskip(SKIP_2) | instid1(VALU_DEP_1)
	v_rcp_iflag_f32_e32 v8, v8
	s_waitcnt_depctr 0xfff
	v_mul_f32_e32 v8, 0x4f7ffffe, v8
	v_cvt_u32_f32_e32 v8, v8
	s_delay_alu instid0(VALU_DEP_1) | instskip(NEXT) | instid1(VALU_DEP_1)
	v_mul_lo_u32 v9, s4, v8
	v_mul_hi_u32 v9, v8, v9
	s_delay_alu instid0(VALU_DEP_1) | instskip(NEXT) | instid1(VALU_DEP_1)
	v_add_nc_u32_e32 v8, v8, v9
	v_mul_hi_u32 v8, v4, v8
	s_delay_alu instid0(VALU_DEP_1) | instskip(SKIP_1) | instid1(VALU_DEP_2)
	v_mul_lo_u32 v9, v8, s10
	v_add_nc_u32_e32 v10, 1, v8
	v_sub_nc_u32_e32 v9, v4, v9
	s_delay_alu instid0(VALU_DEP_1) | instskip(SKIP_1) | instid1(VALU_DEP_2)
	v_subrev_nc_u32_e32 v11, s10, v9
	v_cmp_le_u32_e32 vcc_lo, s10, v9
	v_dual_cndmask_b32 v9, v9, v11 :: v_dual_cndmask_b32 v8, v8, v10
	s_delay_alu instid0(VALU_DEP_1) | instskip(NEXT) | instid1(VALU_DEP_2)
	v_cmp_le_u32_e32 vcc_lo, s10, v9
	v_dual_mov_b32 v9, 0 :: v_dual_add_nc_u32 v10, 1, v8
	s_delay_alu instid0(VALU_DEP_1)
	v_cndmask_b32_e32 v8, v8, v10, vcc_lo
.LBB30_17:
	s_or_b32 exec_lo, exec_lo, s2
	s_delay_alu instid0(VALU_DEP_1) | instskip(NEXT) | instid1(VALU_DEP_2)
	v_mul_lo_u32 v14, s9, v8
	v_mul_lo_u32 v15, s10, v9
	v_mad_u64_u32 v[10:11], null, s10, v8, 0
	s_delay_alu instid0(VALU_DEP_1) | instskip(NEXT) | instid1(VALU_DEP_2)
	v_add3_u32 v11, v11, v15, v14
	v_sub_co_u32 v10, vcc_lo, v4, v10
	v_mov_b32_e32 v4, 0
	s_delay_alu instid0(VALU_DEP_3) | instskip(NEXT) | instid1(VALU_DEP_1)
	v_sub_co_ci_u32_e32 v11, vcc_lo, v5, v11, vcc_lo
	v_or_b32_e32 v5, s8, v11
	s_delay_alu instid0(VALU_DEP_1) | instskip(SKIP_1) | instid1(SALU_CYCLE_1)
	v_cmp_ne_u64_e32 vcc_lo, 0, v[4:5]
                                        ; implicit-def: $vgpr4_vgpr5
	s_and_saveexec_b32 s2, vcc_lo
	s_xor_b32 s9, exec_lo, s2
	s_cbranch_execz .LBB30_19
; %bb.18:
	s_ashr_i32 s4, s8, 31
	s_delay_alu instid0(SALU_CYCLE_1) | instskip(SKIP_2) | instid1(SALU_CYCLE_1)
	s_add_u32 s6, s3, s4
	s_mov_b32 s5, s4
	s_addc_u32 s7, s8, s4
	s_xor_b64 s[6:7], s[6:7], s[4:5]
	s_delay_alu instid0(SALU_CYCLE_1) | instskip(SKIP_3) | instid1(VALU_DEP_1)
	v_cvt_f32_u32_e32 v4, s6
	v_cvt_f32_u32_e32 v5, s7
	s_sub_u32 s2, 0, s6
	s_subb_u32 s5, 0, s7
	v_fmamk_f32 v4, v5, 0x4f800000, v4
	s_delay_alu instid0(VALU_DEP_1) | instskip(SKIP_2) | instid1(VALU_DEP_1)
	v_rcp_f32_e32 v4, v4
	s_waitcnt_depctr 0xfff
	v_mul_f32_e32 v4, 0x5f7ffffc, v4
	v_mul_f32_e32 v5, 0x2f800000, v4
	s_delay_alu instid0(VALU_DEP_1) | instskip(NEXT) | instid1(VALU_DEP_1)
	v_trunc_f32_e32 v5, v5
	v_fmamk_f32 v4, v5, 0xcf800000, v4
	v_cvt_u32_f32_e32 v5, v5
	s_delay_alu instid0(VALU_DEP_2) | instskip(NEXT) | instid1(VALU_DEP_2)
	v_cvt_u32_f32_e32 v4, v4
	v_mul_lo_u32 v14, s2, v5
	s_delay_alu instid0(VALU_DEP_2) | instskip(SKIP_1) | instid1(VALU_DEP_2)
	v_mul_hi_u32 v15, s2, v4
	v_mul_lo_u32 v16, s5, v4
	v_add_nc_u32_e32 v14, v15, v14
	v_mul_lo_u32 v15, s2, v4
	s_delay_alu instid0(VALU_DEP_2) | instskip(NEXT) | instid1(VALU_DEP_2)
	v_add_nc_u32_e32 v14, v14, v16
	v_mul_hi_u32 v16, v4, v15
	s_delay_alu instid0(VALU_DEP_2)
	v_mul_lo_u32 v17, v4, v14
	v_mul_hi_u32 v18, v4, v14
	v_mul_hi_u32 v19, v5, v15
	v_mul_lo_u32 v15, v5, v15
	v_mul_hi_u32 v20, v5, v14
	v_mul_lo_u32 v14, v5, v14
	v_add_co_u32 v16, vcc_lo, v16, v17
	v_add_co_ci_u32_e32 v17, vcc_lo, 0, v18, vcc_lo
	s_delay_alu instid0(VALU_DEP_2) | instskip(NEXT) | instid1(VALU_DEP_2)
	v_add_co_u32 v15, vcc_lo, v16, v15
	v_add_co_ci_u32_e32 v15, vcc_lo, v17, v19, vcc_lo
	v_add_co_ci_u32_e32 v16, vcc_lo, 0, v20, vcc_lo
	v_ashrrev_i32_e32 v19, 31, v11
	s_delay_alu instid0(VALU_DEP_3) | instskip(NEXT) | instid1(VALU_DEP_3)
	v_add_co_u32 v14, vcc_lo, v15, v14
	v_add_co_ci_u32_e32 v15, vcc_lo, 0, v16, vcc_lo
	s_delay_alu instid0(VALU_DEP_2) | instskip(NEXT) | instid1(VALU_DEP_2)
	v_add_co_u32 v4, vcc_lo, v4, v14
	v_add_co_ci_u32_e32 v5, vcc_lo, v5, v15, vcc_lo
	s_delay_alu instid0(VALU_DEP_2) | instskip(SKIP_1) | instid1(VALU_DEP_3)
	v_mul_hi_u32 v14, s2, v4
	v_mul_lo_u32 v16, s5, v4
	v_mul_lo_u32 v15, s2, v5
	s_delay_alu instid0(VALU_DEP_1) | instskip(SKIP_1) | instid1(VALU_DEP_2)
	v_add_nc_u32_e32 v14, v14, v15
	v_mul_lo_u32 v15, s2, v4
	v_add_nc_u32_e32 v14, v14, v16
	s_delay_alu instid0(VALU_DEP_2) | instskip(NEXT) | instid1(VALU_DEP_2)
	v_mul_hi_u32 v16, v4, v15
	v_mul_lo_u32 v17, v4, v14
	v_mul_hi_u32 v18, v4, v14
	v_mul_hi_u32 v20, v5, v15
	v_mul_lo_u32 v15, v5, v15
	v_mul_hi_u32 v21, v5, v14
	v_mul_lo_u32 v14, v5, v14
	v_add_co_u32 v16, vcc_lo, v16, v17
	v_add_co_ci_u32_e32 v17, vcc_lo, 0, v18, vcc_lo
	s_delay_alu instid0(VALU_DEP_2) | instskip(NEXT) | instid1(VALU_DEP_2)
	v_add_co_u32 v15, vcc_lo, v16, v15
	v_add_co_ci_u32_e32 v15, vcc_lo, v17, v20, vcc_lo
	v_add_co_ci_u32_e32 v16, vcc_lo, 0, v21, vcc_lo
	v_add_co_u32 v17, vcc_lo, v10, v19
	v_add_co_ci_u32_e32 v18, vcc_lo, v11, v19, vcc_lo
	s_delay_alu instid0(VALU_DEP_4) | instskip(NEXT) | instid1(VALU_DEP_4)
	v_add_co_u32 v14, vcc_lo, v15, v14
	v_add_co_ci_u32_e32 v15, vcc_lo, 0, v16, vcc_lo
	s_delay_alu instid0(VALU_DEP_4) | instskip(NEXT) | instid1(VALU_DEP_3)
	v_xor_b32_e32 v20, v17, v19
	v_add_co_u32 v16, vcc_lo, v4, v14
	s_delay_alu instid0(VALU_DEP_3) | instskip(SKIP_1) | instid1(VALU_DEP_3)
	v_add_co_ci_u32_e32 v21, vcc_lo, v5, v15, vcc_lo
	v_xor_b32_e32 v18, v18, v19
	v_mul_hi_u32 v22, v20, v16
	s_delay_alu instid0(VALU_DEP_3) | instskip(NEXT) | instid1(VALU_DEP_3)
	v_mad_u64_u32 v[4:5], null, v20, v21, 0
	v_mad_u64_u32 v[14:15], null, v18, v16, 0
	;; [unrolled: 1-line block ×3, first 2 shown]
	s_delay_alu instid0(VALU_DEP_3) | instskip(NEXT) | instid1(VALU_DEP_4)
	v_add_co_u32 v4, vcc_lo, v22, v4
	v_add_co_ci_u32_e32 v5, vcc_lo, 0, v5, vcc_lo
	s_delay_alu instid0(VALU_DEP_2) | instskip(NEXT) | instid1(VALU_DEP_2)
	v_add_co_u32 v4, vcc_lo, v4, v14
	v_add_co_ci_u32_e32 v4, vcc_lo, v5, v15, vcc_lo
	v_add_co_ci_u32_e32 v5, vcc_lo, 0, v17, vcc_lo
	s_delay_alu instid0(VALU_DEP_2) | instskip(NEXT) | instid1(VALU_DEP_2)
	v_add_co_u32 v14, vcc_lo, v4, v16
	v_add_co_ci_u32_e32 v15, vcc_lo, 0, v5, vcc_lo
	s_delay_alu instid0(VALU_DEP_2) | instskip(SKIP_1) | instid1(VALU_DEP_3)
	v_mul_lo_u32 v16, s7, v14
	v_mad_u64_u32 v[4:5], null, s6, v14, 0
	v_mul_lo_u32 v17, s6, v15
	s_delay_alu instid0(VALU_DEP_2) | instskip(NEXT) | instid1(VALU_DEP_2)
	v_sub_co_u32 v4, vcc_lo, v20, v4
	v_add3_u32 v5, v5, v17, v16
	s_delay_alu instid0(VALU_DEP_1) | instskip(NEXT) | instid1(VALU_DEP_1)
	v_sub_nc_u32_e32 v16, v18, v5
	v_subrev_co_ci_u32_e64 v16, s2, s7, v16, vcc_lo
	v_add_co_u32 v17, s2, v14, 2
	s_delay_alu instid0(VALU_DEP_1) | instskip(SKIP_3) | instid1(VALU_DEP_3)
	v_add_co_ci_u32_e64 v20, s2, 0, v15, s2
	v_sub_co_u32 v21, s2, v4, s6
	v_sub_co_ci_u32_e32 v5, vcc_lo, v18, v5, vcc_lo
	v_subrev_co_ci_u32_e64 v16, s2, 0, v16, s2
	v_cmp_le_u32_e32 vcc_lo, s6, v21
	s_delay_alu instid0(VALU_DEP_3) | instskip(SKIP_1) | instid1(VALU_DEP_4)
	v_cmp_eq_u32_e64 s2, s7, v5
	v_cndmask_b32_e64 v18, 0, -1, vcc_lo
	v_cmp_le_u32_e32 vcc_lo, s7, v16
	v_cndmask_b32_e64 v21, 0, -1, vcc_lo
	v_cmp_le_u32_e32 vcc_lo, s6, v4
	;; [unrolled: 2-line block ×3, first 2 shown]
	v_cndmask_b32_e64 v22, 0, -1, vcc_lo
	v_cmp_eq_u32_e32 vcc_lo, s7, v16
	s_delay_alu instid0(VALU_DEP_2) | instskip(SKIP_3) | instid1(VALU_DEP_3)
	v_cndmask_b32_e64 v4, v22, v4, s2
	v_cndmask_b32_e32 v16, v21, v18, vcc_lo
	v_add_co_u32 v18, vcc_lo, v14, 1
	v_add_co_ci_u32_e32 v21, vcc_lo, 0, v15, vcc_lo
	v_cmp_ne_u32_e32 vcc_lo, 0, v16
	s_delay_alu instid0(VALU_DEP_2) | instskip(SKIP_2) | instid1(VALU_DEP_3)
	v_dual_cndmask_b32 v5, v21, v20 :: v_dual_cndmask_b32 v16, v18, v17
	v_cmp_ne_u32_e32 vcc_lo, 0, v4
	v_xor_b32_e32 v17, s4, v19
	v_dual_cndmask_b32 v4, v15, v5 :: v_dual_cndmask_b32 v5, v14, v16
	s_delay_alu instid0(VALU_DEP_1) | instskip(NEXT) | instid1(VALU_DEP_2)
	v_xor_b32_e32 v14, v4, v17
	v_xor_b32_e32 v5, v5, v17
	s_delay_alu instid0(VALU_DEP_1) | instskip(NEXT) | instid1(VALU_DEP_3)
	v_sub_co_u32 v4, vcc_lo, v5, v17
	v_sub_co_ci_u32_e32 v5, vcc_lo, v14, v17, vcc_lo
.LBB30_19:
	s_and_not1_saveexec_b32 s2, s9
	s_cbranch_execz .LBB30_21
; %bb.20:
	v_cvt_f32_u32_e32 v4, s3
	s_sub_i32 s4, 0, s3
	s_delay_alu instid0(VALU_DEP_1) | instskip(SKIP_2) | instid1(VALU_DEP_1)
	v_rcp_iflag_f32_e32 v4, v4
	s_waitcnt_depctr 0xfff
	v_mul_f32_e32 v4, 0x4f7ffffe, v4
	v_cvt_u32_f32_e32 v4, v4
	s_delay_alu instid0(VALU_DEP_1) | instskip(NEXT) | instid1(VALU_DEP_1)
	v_mul_lo_u32 v5, s4, v4
	v_mul_hi_u32 v5, v4, v5
	s_delay_alu instid0(VALU_DEP_1) | instskip(NEXT) | instid1(VALU_DEP_1)
	v_add_nc_u32_e32 v4, v4, v5
	v_mul_hi_u32 v4, v10, v4
	s_delay_alu instid0(VALU_DEP_1) | instskip(SKIP_1) | instid1(VALU_DEP_2)
	v_mul_lo_u32 v5, v4, s3
	v_add_nc_u32_e32 v14, 1, v4
	v_sub_nc_u32_e32 v5, v10, v5
	s_delay_alu instid0(VALU_DEP_1) | instskip(SKIP_1) | instid1(VALU_DEP_2)
	v_subrev_nc_u32_e32 v15, s3, v5
	v_cmp_le_u32_e32 vcc_lo, s3, v5
	v_dual_cndmask_b32 v5, v5, v15 :: v_dual_cndmask_b32 v4, v4, v14
	s_delay_alu instid0(VALU_DEP_1) | instskip(NEXT) | instid1(VALU_DEP_2)
	v_cmp_le_u32_e32 vcc_lo, s3, v5
	v_dual_mov_b32 v5, 0 :: v_dual_add_nc_u32 v14, 1, v4
	s_delay_alu instid0(VALU_DEP_1)
	v_cndmask_b32_e32 v4, v4, v14, vcc_lo
.LBB30_21:
	s_or_b32 exec_lo, exec_lo, s2
	s_delay_alu instid0(VALU_DEP_1) | instskip(NEXT) | instid1(VALU_DEP_2)
	v_mul_lo_u32 v16, s8, v4
	v_mul_lo_u32 v17, s3, v5
	v_mad_u64_u32 v[14:15], null, s3, v4, 0
	s_delay_alu instid0(VALU_DEP_1) | instskip(NEXT) | instid1(VALU_DEP_2)
	v_add3_u32 v15, v15, v17, v16
	v_sub_co_u32 v14, vcc_lo, v10, v14
	v_mov_b32_e32 v10, 0
	s_delay_alu instid0(VALU_DEP_3) | instskip(NEXT) | instid1(VALU_DEP_1)
	v_sub_co_ci_u32_e32 v15, vcc_lo, v11, v15, vcc_lo
	v_or_b32_e32 v11, s41, v15
	s_delay_alu instid0(VALU_DEP_1) | instskip(SKIP_1) | instid1(SALU_CYCLE_1)
	v_cmp_ne_u64_e32 vcc_lo, 0, v[10:11]
                                        ; implicit-def: $vgpr10_vgpr11
	s_and_saveexec_b32 s2, vcc_lo
	s_xor_b32 s3, exec_lo, s2
	s_cbranch_execz .LBB30_23
; %bb.22:
	s_ashr_i32 s4, s41, 31
	s_delay_alu instid0(SALU_CYCLE_1) | instskip(SKIP_2) | instid1(SALU_CYCLE_1)
	s_add_u32 s6, s40, s4
	s_mov_b32 s5, s4
	s_addc_u32 s7, s41, s4
	s_xor_b64 s[6:7], s[6:7], s[4:5]
	s_delay_alu instid0(SALU_CYCLE_1) | instskip(SKIP_3) | instid1(VALU_DEP_1)
	v_cvt_f32_u32_e32 v10, s6
	v_cvt_f32_u32_e32 v11, s7
	s_sub_u32 s2, 0, s6
	s_subb_u32 s5, 0, s7
	v_fmamk_f32 v10, v11, 0x4f800000, v10
	s_delay_alu instid0(VALU_DEP_1) | instskip(SKIP_2) | instid1(VALU_DEP_1)
	v_rcp_f32_e32 v10, v10
	s_waitcnt_depctr 0xfff
	v_mul_f32_e32 v10, 0x5f7ffffc, v10
	v_mul_f32_e32 v11, 0x2f800000, v10
	s_delay_alu instid0(VALU_DEP_1) | instskip(NEXT) | instid1(VALU_DEP_1)
	v_trunc_f32_e32 v11, v11
	v_fmamk_f32 v10, v11, 0xcf800000, v10
	v_cvt_u32_f32_e32 v11, v11
	s_delay_alu instid0(VALU_DEP_2) | instskip(NEXT) | instid1(VALU_DEP_2)
	v_cvt_u32_f32_e32 v10, v10
	v_mul_lo_u32 v16, s2, v11
	s_delay_alu instid0(VALU_DEP_2) | instskip(SKIP_1) | instid1(VALU_DEP_2)
	v_mul_hi_u32 v17, s2, v10
	v_mul_lo_u32 v18, s5, v10
	v_add_nc_u32_e32 v16, v17, v16
	v_mul_lo_u32 v17, s2, v10
	s_delay_alu instid0(VALU_DEP_2) | instskip(NEXT) | instid1(VALU_DEP_2)
	v_add_nc_u32_e32 v16, v16, v18
	v_mul_hi_u32 v18, v10, v17
	s_delay_alu instid0(VALU_DEP_2)
	v_mul_lo_u32 v19, v10, v16
	v_mul_hi_u32 v20, v10, v16
	v_mul_hi_u32 v21, v11, v17
	v_mul_lo_u32 v17, v11, v17
	v_mul_hi_u32 v22, v11, v16
	v_mul_lo_u32 v16, v11, v16
	v_add_co_u32 v18, vcc_lo, v18, v19
	v_add_co_ci_u32_e32 v19, vcc_lo, 0, v20, vcc_lo
	s_delay_alu instid0(VALU_DEP_2) | instskip(NEXT) | instid1(VALU_DEP_2)
	v_add_co_u32 v17, vcc_lo, v18, v17
	v_add_co_ci_u32_e32 v17, vcc_lo, v19, v21, vcc_lo
	v_add_co_ci_u32_e32 v18, vcc_lo, 0, v22, vcc_lo
	v_ashrrev_i32_e32 v21, 31, v15
	s_delay_alu instid0(VALU_DEP_3) | instskip(NEXT) | instid1(VALU_DEP_3)
	v_add_co_u32 v16, vcc_lo, v17, v16
	v_add_co_ci_u32_e32 v17, vcc_lo, 0, v18, vcc_lo
	s_delay_alu instid0(VALU_DEP_2) | instskip(NEXT) | instid1(VALU_DEP_2)
	v_add_co_u32 v10, vcc_lo, v10, v16
	v_add_co_ci_u32_e32 v11, vcc_lo, v11, v17, vcc_lo
	s_delay_alu instid0(VALU_DEP_2) | instskip(SKIP_1) | instid1(VALU_DEP_3)
	v_mul_hi_u32 v16, s2, v10
	v_mul_lo_u32 v18, s5, v10
	v_mul_lo_u32 v17, s2, v11
	s_delay_alu instid0(VALU_DEP_1) | instskip(SKIP_1) | instid1(VALU_DEP_2)
	v_add_nc_u32_e32 v16, v16, v17
	v_mul_lo_u32 v17, s2, v10
	v_add_nc_u32_e32 v16, v16, v18
	s_delay_alu instid0(VALU_DEP_2) | instskip(NEXT) | instid1(VALU_DEP_2)
	v_mul_hi_u32 v18, v10, v17
	v_mul_lo_u32 v19, v10, v16
	v_mul_hi_u32 v20, v10, v16
	v_mul_hi_u32 v22, v11, v17
	v_mul_lo_u32 v17, v11, v17
	v_mul_hi_u32 v23, v11, v16
	v_mul_lo_u32 v16, v11, v16
	v_add_co_u32 v18, vcc_lo, v18, v19
	v_add_co_ci_u32_e32 v19, vcc_lo, 0, v20, vcc_lo
	s_delay_alu instid0(VALU_DEP_2) | instskip(NEXT) | instid1(VALU_DEP_2)
	v_add_co_u32 v17, vcc_lo, v18, v17
	v_add_co_ci_u32_e32 v17, vcc_lo, v19, v22, vcc_lo
	v_add_co_ci_u32_e32 v18, vcc_lo, 0, v23, vcc_lo
	v_add_co_u32 v19, vcc_lo, v14, v21
	v_add_co_ci_u32_e32 v20, vcc_lo, v15, v21, vcc_lo
	s_delay_alu instid0(VALU_DEP_4) | instskip(NEXT) | instid1(VALU_DEP_4)
	v_add_co_u32 v16, vcc_lo, v17, v16
	v_add_co_ci_u32_e32 v17, vcc_lo, 0, v18, vcc_lo
	s_delay_alu instid0(VALU_DEP_4) | instskip(NEXT) | instid1(VALU_DEP_3)
	v_xor_b32_e32 v22, v19, v21
	v_add_co_u32 v18, vcc_lo, v10, v16
	s_delay_alu instid0(VALU_DEP_3) | instskip(SKIP_1) | instid1(VALU_DEP_3)
	v_add_co_ci_u32_e32 v23, vcc_lo, v11, v17, vcc_lo
	v_xor_b32_e32 v20, v20, v21
	v_mul_hi_u32 v24, v22, v18
	s_delay_alu instid0(VALU_DEP_3) | instskip(NEXT) | instid1(VALU_DEP_3)
	v_mad_u64_u32 v[10:11], null, v22, v23, 0
	v_mad_u64_u32 v[16:17], null, v20, v18, 0
	;; [unrolled: 1-line block ×3, first 2 shown]
	s_delay_alu instid0(VALU_DEP_3) | instskip(NEXT) | instid1(VALU_DEP_4)
	v_add_co_u32 v10, vcc_lo, v24, v10
	v_add_co_ci_u32_e32 v11, vcc_lo, 0, v11, vcc_lo
	s_delay_alu instid0(VALU_DEP_2) | instskip(NEXT) | instid1(VALU_DEP_2)
	v_add_co_u32 v10, vcc_lo, v10, v16
	v_add_co_ci_u32_e32 v10, vcc_lo, v11, v17, vcc_lo
	v_add_co_ci_u32_e32 v11, vcc_lo, 0, v19, vcc_lo
	s_delay_alu instid0(VALU_DEP_2) | instskip(NEXT) | instid1(VALU_DEP_2)
	v_add_co_u32 v16, vcc_lo, v10, v18
	v_add_co_ci_u32_e32 v17, vcc_lo, 0, v11, vcc_lo
	s_delay_alu instid0(VALU_DEP_2) | instskip(SKIP_1) | instid1(VALU_DEP_3)
	v_mul_lo_u32 v18, s7, v16
	v_mad_u64_u32 v[10:11], null, s6, v16, 0
	v_mul_lo_u32 v19, s6, v17
	s_delay_alu instid0(VALU_DEP_2) | instskip(NEXT) | instid1(VALU_DEP_2)
	v_sub_co_u32 v10, vcc_lo, v22, v10
	v_add3_u32 v11, v11, v19, v18
	s_delay_alu instid0(VALU_DEP_1) | instskip(NEXT) | instid1(VALU_DEP_1)
	v_sub_nc_u32_e32 v18, v20, v11
	v_subrev_co_ci_u32_e64 v18, s2, s7, v18, vcc_lo
	v_add_co_u32 v19, s2, v16, 2
	s_delay_alu instid0(VALU_DEP_1) | instskip(SKIP_3) | instid1(VALU_DEP_3)
	v_add_co_ci_u32_e64 v22, s2, 0, v17, s2
	v_sub_co_u32 v23, s2, v10, s6
	v_sub_co_ci_u32_e32 v11, vcc_lo, v20, v11, vcc_lo
	v_subrev_co_ci_u32_e64 v18, s2, 0, v18, s2
	v_cmp_le_u32_e32 vcc_lo, s6, v23
	s_delay_alu instid0(VALU_DEP_3) | instskip(SKIP_1) | instid1(VALU_DEP_4)
	v_cmp_eq_u32_e64 s2, s7, v11
	v_cndmask_b32_e64 v20, 0, -1, vcc_lo
	v_cmp_le_u32_e32 vcc_lo, s7, v18
	v_cndmask_b32_e64 v23, 0, -1, vcc_lo
	v_cmp_le_u32_e32 vcc_lo, s6, v10
	v_cndmask_b32_e64 v10, 0, -1, vcc_lo
	v_cmp_le_u32_e32 vcc_lo, s7, v11
	v_cndmask_b32_e64 v24, 0, -1, vcc_lo
	v_cmp_eq_u32_e32 vcc_lo, s7, v18
	s_delay_alu instid0(VALU_DEP_2) | instskip(SKIP_3) | instid1(VALU_DEP_3)
	v_cndmask_b32_e64 v10, v24, v10, s2
	v_cndmask_b32_e32 v18, v23, v20, vcc_lo
	v_add_co_u32 v20, vcc_lo, v16, 1
	v_add_co_ci_u32_e32 v23, vcc_lo, 0, v17, vcc_lo
	v_cmp_ne_u32_e32 vcc_lo, 0, v18
	s_delay_alu instid0(VALU_DEP_2) | instskip(SKIP_2) | instid1(VALU_DEP_3)
	v_dual_cndmask_b32 v11, v23, v22 :: v_dual_cndmask_b32 v18, v20, v19
	v_cmp_ne_u32_e32 vcc_lo, 0, v10
	v_xor_b32_e32 v19, s4, v21
	v_dual_cndmask_b32 v10, v17, v11 :: v_dual_cndmask_b32 v11, v16, v18
	s_delay_alu instid0(VALU_DEP_1) | instskip(NEXT) | instid1(VALU_DEP_2)
	v_xor_b32_e32 v16, v10, v19
	v_xor_b32_e32 v11, v11, v19
	s_delay_alu instid0(VALU_DEP_1) | instskip(NEXT) | instid1(VALU_DEP_3)
	v_sub_co_u32 v10, vcc_lo, v11, v19
	v_sub_co_ci_u32_e32 v11, vcc_lo, v16, v19, vcc_lo
.LBB30_23:
	s_and_not1_saveexec_b32 s2, s3
	s_cbranch_execz .LBB30_25
; %bb.24:
	v_cvt_f32_u32_e32 v10, s40
	s_sub_i32 s3, 0, s40
	s_delay_alu instid0(VALU_DEP_1) | instskip(SKIP_2) | instid1(VALU_DEP_1)
	v_rcp_iflag_f32_e32 v10, v10
	s_waitcnt_depctr 0xfff
	v_mul_f32_e32 v10, 0x4f7ffffe, v10
	v_cvt_u32_f32_e32 v10, v10
	s_delay_alu instid0(VALU_DEP_1) | instskip(NEXT) | instid1(VALU_DEP_1)
	v_mul_lo_u32 v11, s3, v10
	v_mul_hi_u32 v11, v10, v11
	s_delay_alu instid0(VALU_DEP_1) | instskip(NEXT) | instid1(VALU_DEP_1)
	v_add_nc_u32_e32 v10, v10, v11
	v_mul_hi_u32 v10, v14, v10
	s_delay_alu instid0(VALU_DEP_1) | instskip(SKIP_1) | instid1(VALU_DEP_2)
	v_mul_lo_u32 v11, v10, s40
	v_add_nc_u32_e32 v16, 1, v10
	v_sub_nc_u32_e32 v11, v14, v11
	s_delay_alu instid0(VALU_DEP_1) | instskip(SKIP_1) | instid1(VALU_DEP_2)
	v_subrev_nc_u32_e32 v17, s40, v11
	v_cmp_le_u32_e32 vcc_lo, s40, v11
	v_dual_cndmask_b32 v11, v11, v17 :: v_dual_cndmask_b32 v10, v10, v16
	s_delay_alu instid0(VALU_DEP_1) | instskip(NEXT) | instid1(VALU_DEP_2)
	v_cmp_le_u32_e32 vcc_lo, s40, v11
	v_dual_mov_b32 v11, 0 :: v_dual_add_nc_u32 v16, 1, v10
	s_delay_alu instid0(VALU_DEP_1)
	v_cndmask_b32_e32 v10, v10, v16, vcc_lo
.LBB30_25:
	s_or_b32 exec_lo, exec_lo, s2
	v_mul_lo_u32 v18, v7, s22
	v_mul_lo_u32 v19, v6, s23
	v_mad_u64_u32 v[16:17], null, v6, s22, 0
	v_mul_lo_u32 v7, v7, s30
	v_mul_lo_u32 v3, v3, s36
	s_load_b64 s[0:1], s[0:1], 0x80
	s_delay_alu instid0(VALU_DEP_3) | instskip(NEXT) | instid1(VALU_DEP_4)
	v_add3_u32 v17, v17, v19, v18
	v_sub_co_u32 v16, vcc_lo, v12, v16
	s_delay_alu instid0(VALU_DEP_2) | instskip(NEXT) | instid1(VALU_DEP_2)
	v_sub_co_ci_u32_e32 v17, vcc_lo, v13, v17, vcc_lo
	v_mul_lo_u32 v18, v16, s29
	v_mad_u64_u32 v[12:13], null, v16, s28, s[16:17]
	s_delay_alu instid0(VALU_DEP_3) | instskip(NEXT) | instid1(VALU_DEP_1)
	v_mul_lo_u32 v16, v17, s28
	v_add3_u32 v13, v16, v13, v18
	v_mul_lo_u32 v18, v6, s31
	s_delay_alu instid0(VALU_DEP_2) | instskip(SKIP_1) | instid1(VALU_DEP_2)
	v_mad_u64_u32 v[16:17], null, v6, s30, v[12:13]
	v_mul_lo_u32 v12, v2, s37
	v_add3_u32 v17, v7, v17, v18
	s_delay_alu instid0(VALU_DEP_1) | instskip(NEXT) | instid1(VALU_DEP_1)
	v_mad_u64_u32 v[6:7], null, v2, s36, v[16:17]
	v_add3_u32 v7, v3, v7, v12
	v_mul_lo_u32 v12, v0, s39
	s_delay_alu instid0(VALU_DEP_2) | instskip(SKIP_1) | instid1(VALU_DEP_1)
	v_mad_u64_u32 v[2:3], null, v0, s38, v[6:7]
	v_mul_lo_u32 v0, v1, s38
	v_add3_u32 v3, v0, v3, v12
	v_mad_u64_u32 v[0:1], null, v10, s40, 0
	global_load_b32 v6, v[2:3], off
	v_mul_lo_u32 v2, v11, s40
	v_mul_lo_u32 v3, v10, s41
	s_delay_alu instid0(VALU_DEP_1) | instskip(SKIP_1) | instid1(VALU_DEP_2)
	v_add3_u32 v1, v1, v3, v2
	v_sub_co_u32 v2, vcc_lo, v14, v0
	v_sub_co_ci_u32_e32 v0, vcc_lo, v15, v1, vcc_lo
	s_delay_alu instid0(VALU_DEP_2) | instskip(NEXT) | instid1(VALU_DEP_2)
	v_mul_lo_u32 v3, v2, s47
	v_mul_lo_u32 v7, v0, s46
	v_mad_u64_u32 v[0:1], null, v2, s46, s[18:19]
	s_delay_alu instid0(VALU_DEP_1) | instskip(NEXT) | instid1(VALU_DEP_1)
	v_add3_u32 v1, v7, v1, v3
	v_mad_u64_u32 v[2:3], null, v10, s48, v[0:1]
	v_mul_lo_u32 v0, v10, s49
	v_mul_lo_u32 v1, v11, s48
	s_delay_alu instid0(VALU_DEP_1) | instskip(NEXT) | instid1(VALU_DEP_1)
	v_add3_u32 v3, v1, v3, v0
	v_mad_u64_u32 v[0:1], null, v4, s50, v[2:3]
	v_mul_lo_u32 v2, v4, s51
	v_mul_lo_u32 v3, v5, s50
	s_delay_alu instid0(VALU_DEP_1) | instskip(SKIP_1) | instid1(VALU_DEP_1)
	v_add3_u32 v1, v3, v1, v2
	s_waitcnt lgkmcnt(0)
	v_mad_u64_u32 v[2:3], null, v8, s0, v[0:1]
	v_mul_lo_u32 v0, v8, s1
	v_mul_lo_u32 v1, v9, s0
	s_delay_alu instid0(VALU_DEP_1)
	v_add3_u32 v3, v1, v3, v0
	s_waitcnt vmcnt(0)
	global_store_b32 v[2:3], v6, off
.LBB30_26:
	s_nop 0
	s_sendmsg sendmsg(MSG_DEALLOC_VGPRS)
	s_endpgm
	.section	.rodata,"a",@progbits
	.p2align	6, 0x0
	.amdhsa_kernel _ZL10cpy_scalarIXadL_ZL12cpy_1_scalarIiiEvPKcPcEEEvS2_S3_lllllllllllllll
		.amdhsa_group_segment_fixed_size 0
		.amdhsa_private_segment_fixed_size 0
		.amdhsa_kernarg_size 392
		.amdhsa_user_sgpr_count 15
		.amdhsa_user_sgpr_dispatch_ptr 0
		.amdhsa_user_sgpr_queue_ptr 0
		.amdhsa_user_sgpr_kernarg_segment_ptr 1
		.amdhsa_user_sgpr_dispatch_id 0
		.amdhsa_user_sgpr_private_segment_size 0
		.amdhsa_wavefront_size32 1
		.amdhsa_uses_dynamic_stack 0
		.amdhsa_enable_private_segment 0
		.amdhsa_system_sgpr_workgroup_id_x 1
		.amdhsa_system_sgpr_workgroup_id_y 0
		.amdhsa_system_sgpr_workgroup_id_z 0
		.amdhsa_system_sgpr_workgroup_info 0
		.amdhsa_system_vgpr_workitem_id 0
		.amdhsa_next_free_vgpr 25
		.amdhsa_next_free_sgpr 52
		.amdhsa_reserve_vcc 1
		.amdhsa_float_round_mode_32 0
		.amdhsa_float_round_mode_16_64 0
		.amdhsa_float_denorm_mode_32 3
		.amdhsa_float_denorm_mode_16_64 3
		.amdhsa_dx10_clamp 1
		.amdhsa_ieee_mode 1
		.amdhsa_fp16_overflow 0
		.amdhsa_workgroup_processor_mode 1
		.amdhsa_memory_ordered 1
		.amdhsa_forward_progress 0
		.amdhsa_shared_vgpr_count 0
		.amdhsa_exception_fp_ieee_invalid_op 0
		.amdhsa_exception_fp_denorm_src 0
		.amdhsa_exception_fp_ieee_div_zero 0
		.amdhsa_exception_fp_ieee_overflow 0
		.amdhsa_exception_fp_ieee_underflow 0
		.amdhsa_exception_fp_ieee_inexact 0
		.amdhsa_exception_int_div_zero 0
	.end_amdhsa_kernel
	.section	.text._ZL10cpy_scalarIXadL_ZL12cpy_1_scalarIiiEvPKcPcEEEvS2_S3_lllllllllllllll,"axG",@progbits,_ZL10cpy_scalarIXadL_ZL12cpy_1_scalarIiiEvPKcPcEEEvS2_S3_lllllllllllllll,comdat
.Lfunc_end30:
	.size	_ZL10cpy_scalarIXadL_ZL12cpy_1_scalarIiiEvPKcPcEEEvS2_S3_lllllllllllllll, .Lfunc_end30-_ZL10cpy_scalarIXadL_ZL12cpy_1_scalarIiiEvPKcPcEEEvS2_S3_lllllllllllllll
                                        ; -- End function
	.section	.AMDGPU.csdata,"",@progbits
; Kernel info:
; codeLenInByte = 6828
; NumSgprs: 54
; NumVgprs: 25
; ScratchSize: 0
; MemoryBound: 0
; FloatMode: 240
; IeeeMode: 1
; LDSByteSize: 0 bytes/workgroup (compile time only)
; SGPRBlocks: 6
; VGPRBlocks: 3
; NumSGPRsForWavesPerEU: 54
; NumVGPRsForWavesPerEU: 25
; Occupancy: 16
; WaveLimiterHint : 0
; COMPUTE_PGM_RSRC2:SCRATCH_EN: 0
; COMPUTE_PGM_RSRC2:USER_SGPR: 15
; COMPUTE_PGM_RSRC2:TRAP_HANDLER: 0
; COMPUTE_PGM_RSRC2:TGID_X_EN: 1
; COMPUTE_PGM_RSRC2:TGID_Y_EN: 0
; COMPUTE_PGM_RSRC2:TGID_Z_EN: 0
; COMPUTE_PGM_RSRC2:TIDIG_COMP_CNT: 0
	.section	.text._ZL21cpy_scalar_contiguousIfiEvPKcPcl,"axG",@progbits,_ZL21cpy_scalar_contiguousIfiEvPKcPcl,comdat
	.globl	_ZL21cpy_scalar_contiguousIfiEvPKcPcl ; -- Begin function _ZL21cpy_scalar_contiguousIfiEvPKcPcl
	.p2align	8
	.type	_ZL21cpy_scalar_contiguousIfiEvPKcPcl,@function
_ZL21cpy_scalar_contiguousIfiEvPKcPcl:  ; @_ZL21cpy_scalar_contiguousIfiEvPKcPcl
; %bb.0:
	s_clause 0x1
	s_load_b32 s4, s[0:1], 0x24
	s_load_b64 s[2:3], s[0:1], 0x10
	v_mov_b32_e32 v1, 0
	s_waitcnt lgkmcnt(0)
	s_and_b32 s4, s4, 0xffff
	s_delay_alu instid0(VALU_DEP_1) | instid1(SALU_CYCLE_1)
	v_mad_u64_u32 v[2:3], null, s4, s15, v[0:1]
	s_delay_alu instid0(VALU_DEP_1)
	v_cmp_gt_i64_e32 vcc_lo, s[2:3], v[2:3]
	s_and_saveexec_b32 s2, vcc_lo
	s_cbranch_execz .LBB31_2
; %bb.1:
	s_load_b128 s[0:3], s[0:1], 0x0
	v_lshlrev_b64 v[0:1], 2, v[2:3]
	s_waitcnt lgkmcnt(0)
	s_delay_alu instid0(VALU_DEP_1) | instskip(NEXT) | instid1(VALU_DEP_2)
	v_add_co_u32 v2, vcc_lo, s0, v0
	v_add_co_ci_u32_e32 v3, vcc_lo, s1, v1, vcc_lo
	v_add_co_u32 v0, vcc_lo, s2, v0
	v_add_co_ci_u32_e32 v1, vcc_lo, s3, v1, vcc_lo
	global_load_b32 v2, v[2:3], off
	s_waitcnt vmcnt(0)
	v_cvt_i32_f32_e32 v2, v2
	global_store_b32 v[0:1], v2, off
.LBB31_2:
	s_nop 0
	s_sendmsg sendmsg(MSG_DEALLOC_VGPRS)
	s_endpgm
	.section	.rodata,"a",@progbits
	.p2align	6, 0x0
	.amdhsa_kernel _ZL21cpy_scalar_contiguousIfiEvPKcPcl
		.amdhsa_group_segment_fixed_size 0
		.amdhsa_private_segment_fixed_size 0
		.amdhsa_kernarg_size 280
		.amdhsa_user_sgpr_count 15
		.amdhsa_user_sgpr_dispatch_ptr 0
		.amdhsa_user_sgpr_queue_ptr 0
		.amdhsa_user_sgpr_kernarg_segment_ptr 1
		.amdhsa_user_sgpr_dispatch_id 0
		.amdhsa_user_sgpr_private_segment_size 0
		.amdhsa_wavefront_size32 1
		.amdhsa_uses_dynamic_stack 0
		.amdhsa_enable_private_segment 0
		.amdhsa_system_sgpr_workgroup_id_x 1
		.amdhsa_system_sgpr_workgroup_id_y 0
		.amdhsa_system_sgpr_workgroup_id_z 0
		.amdhsa_system_sgpr_workgroup_info 0
		.amdhsa_system_vgpr_workitem_id 0
		.amdhsa_next_free_vgpr 4
		.amdhsa_next_free_sgpr 16
		.amdhsa_reserve_vcc 1
		.amdhsa_float_round_mode_32 0
		.amdhsa_float_round_mode_16_64 0
		.amdhsa_float_denorm_mode_32 3
		.amdhsa_float_denorm_mode_16_64 3
		.amdhsa_dx10_clamp 1
		.amdhsa_ieee_mode 1
		.amdhsa_fp16_overflow 0
		.amdhsa_workgroup_processor_mode 1
		.amdhsa_memory_ordered 1
		.amdhsa_forward_progress 0
		.amdhsa_shared_vgpr_count 0
		.amdhsa_exception_fp_ieee_invalid_op 0
		.amdhsa_exception_fp_denorm_src 0
		.amdhsa_exception_fp_ieee_div_zero 0
		.amdhsa_exception_fp_ieee_overflow 0
		.amdhsa_exception_fp_ieee_underflow 0
		.amdhsa_exception_fp_ieee_inexact 0
		.amdhsa_exception_int_div_zero 0
	.end_amdhsa_kernel
	.section	.text._ZL21cpy_scalar_contiguousIfiEvPKcPcl,"axG",@progbits,_ZL21cpy_scalar_contiguousIfiEvPKcPcl,comdat
.Lfunc_end31:
	.size	_ZL21cpy_scalar_contiguousIfiEvPKcPcl, .Lfunc_end31-_ZL21cpy_scalar_contiguousIfiEvPKcPcl
                                        ; -- End function
	.section	.AMDGPU.csdata,"",@progbits
; Kernel info:
; codeLenInByte = 148
; NumSgprs: 18
; NumVgprs: 4
; ScratchSize: 0
; MemoryBound: 0
; FloatMode: 240
; IeeeMode: 1
; LDSByteSize: 0 bytes/workgroup (compile time only)
; SGPRBlocks: 2
; VGPRBlocks: 0
; NumSGPRsForWavesPerEU: 18
; NumVGPRsForWavesPerEU: 4
; Occupancy: 16
; WaveLimiterHint : 0
; COMPUTE_PGM_RSRC2:SCRATCH_EN: 0
; COMPUTE_PGM_RSRC2:USER_SGPR: 15
; COMPUTE_PGM_RSRC2:TRAP_HANDLER: 0
; COMPUTE_PGM_RSRC2:TGID_X_EN: 1
; COMPUTE_PGM_RSRC2:TGID_Y_EN: 0
; COMPUTE_PGM_RSRC2:TGID_Z_EN: 0
; COMPUTE_PGM_RSRC2:TIDIG_COMP_CNT: 0
	.section	.text._ZL10cpy_scalarIXadL_ZL12cpy_1_scalarIfiEvPKcPcEEEvS2_S3_lllllllllllllll,"axG",@progbits,_ZL10cpy_scalarIXadL_ZL12cpy_1_scalarIfiEvPKcPcEEEvS2_S3_lllllllllllllll,comdat
	.globl	_ZL10cpy_scalarIXadL_ZL12cpy_1_scalarIfiEvPKcPcEEEvS2_S3_lllllllllllllll ; -- Begin function _ZL10cpy_scalarIXadL_ZL12cpy_1_scalarIfiEvPKcPcEEEvS2_S3_lllllllllllllll
	.p2align	8
	.type	_ZL10cpy_scalarIXadL_ZL12cpy_1_scalarIfiEvPKcPcEEEvS2_S3_lllllllllllllll,@function
_ZL10cpy_scalarIXadL_ZL12cpy_1_scalarIfiEvPKcPcEEEvS2_S3_lllllllllllllll: ; @_ZL10cpy_scalarIXadL_ZL12cpy_1_scalarIfiEvPKcPcEEEvS2_S3_lllllllllllllll
; %bb.0:
	s_clause 0x1
	s_load_b32 s2, s[0:1], 0x94
	s_load_b512 s[16:31], s[0:1], 0x0
	v_mov_b32_e32 v2, 0
	s_delay_alu instid0(VALU_DEP_1)
	v_mov_b32_e32 v1, v2
	s_waitcnt lgkmcnt(0)
	s_and_b32 s2, s2, 0xffff
	s_delay_alu instid0(VALU_DEP_1) | instid1(SALU_CYCLE_1)
	v_mad_u64_u32 v[4:5], null, s2, s15, v[0:1]
	s_mov_b32 s2, exec_lo
	s_delay_alu instid0(VALU_DEP_1)
	v_cmpx_gt_i64_e64 s[20:21], v[4:5]
	s_cbranch_execz .LBB32_26
; %bb.1:
	s_mul_i32 s2, s24, s23
	s_mul_hi_u32 s3, s24, s22
	v_ashrrev_i32_e32 v10, 31, v5
	s_add_i32 s8, s3, s2
	s_mul_i32 s3, s24, s22
	s_mul_i32 s2, s25, s22
	;; [unrolled: 1-line block ×3, first 2 shown]
	s_mul_hi_u32 s5, s3, s26
	s_add_i32 s8, s8, s2
	s_add_i32 s2, s5, s4
	s_mul_i32 s4, s8, s26
	s_mul_i32 s10, s3, s26
	s_add_i32 s9, s2, s4
                                        ; implicit-def: $vgpr0_vgpr1
	s_mov_b32 s2, exec_lo
	v_or_b32_e32 v3, s9, v5
	s_delay_alu instid0(VALU_DEP_1)
	v_cmpx_ne_u64_e32 0, v[2:3]
	s_xor_b32 s11, exec_lo, s2
	s_cbranch_execz .LBB32_3
; %bb.2:
	s_ashr_i32 s4, s9, 31
	s_delay_alu instid0(SALU_CYCLE_1) | instskip(SKIP_2) | instid1(SALU_CYCLE_1)
	s_add_u32 s6, s10, s4
	s_mov_b32 s5, s4
	s_addc_u32 s7, s9, s4
	s_xor_b64 s[6:7], s[6:7], s[4:5]
	s_delay_alu instid0(SALU_CYCLE_1) | instskip(SKIP_3) | instid1(VALU_DEP_1)
	v_cvt_f32_u32_e32 v0, s6
	v_cvt_f32_u32_e32 v1, s7
	s_sub_u32 s2, 0, s6
	s_subb_u32 s5, 0, s7
	v_fmamk_f32 v0, v1, 0x4f800000, v0
	s_delay_alu instid0(VALU_DEP_1) | instskip(SKIP_2) | instid1(VALU_DEP_1)
	v_rcp_f32_e32 v0, v0
	s_waitcnt_depctr 0xfff
	v_mul_f32_e32 v0, 0x5f7ffffc, v0
	v_mul_f32_e32 v1, 0x2f800000, v0
	s_delay_alu instid0(VALU_DEP_1) | instskip(NEXT) | instid1(VALU_DEP_1)
	v_trunc_f32_e32 v1, v1
	v_fmamk_f32 v0, v1, 0xcf800000, v0
	v_cvt_u32_f32_e32 v1, v1
	s_delay_alu instid0(VALU_DEP_2) | instskip(NEXT) | instid1(VALU_DEP_2)
	v_cvt_u32_f32_e32 v0, v0
	v_mul_lo_u32 v2, s2, v1
	s_delay_alu instid0(VALU_DEP_2) | instskip(SKIP_1) | instid1(VALU_DEP_2)
	v_mul_hi_u32 v3, s2, v0
	v_mul_lo_u32 v6, s5, v0
	v_add_nc_u32_e32 v2, v3, v2
	v_mul_lo_u32 v3, s2, v0
	s_delay_alu instid0(VALU_DEP_2) | instskip(NEXT) | instid1(VALU_DEP_2)
	v_add_nc_u32_e32 v2, v2, v6
	v_mul_hi_u32 v6, v0, v3
	s_delay_alu instid0(VALU_DEP_2)
	v_mul_lo_u32 v7, v0, v2
	v_mul_hi_u32 v8, v0, v2
	v_mul_hi_u32 v9, v1, v3
	v_mul_lo_u32 v3, v1, v3
	v_mul_hi_u32 v11, v1, v2
	v_mul_lo_u32 v2, v1, v2
	v_add_co_u32 v6, vcc_lo, v6, v7
	v_add_co_ci_u32_e32 v7, vcc_lo, 0, v8, vcc_lo
	s_delay_alu instid0(VALU_DEP_2) | instskip(NEXT) | instid1(VALU_DEP_2)
	v_add_co_u32 v3, vcc_lo, v6, v3
	v_add_co_ci_u32_e32 v3, vcc_lo, v7, v9, vcc_lo
	v_add_co_ci_u32_e32 v6, vcc_lo, 0, v11, vcc_lo
	s_delay_alu instid0(VALU_DEP_2) | instskip(NEXT) | instid1(VALU_DEP_2)
	v_add_co_u32 v2, vcc_lo, v3, v2
	v_add_co_ci_u32_e32 v3, vcc_lo, 0, v6, vcc_lo
	s_delay_alu instid0(VALU_DEP_2) | instskip(NEXT) | instid1(VALU_DEP_2)
	v_add_co_u32 v0, vcc_lo, v0, v2
	v_add_co_ci_u32_e32 v1, vcc_lo, v1, v3, vcc_lo
	s_delay_alu instid0(VALU_DEP_2) | instskip(SKIP_1) | instid1(VALU_DEP_3)
	v_mul_hi_u32 v2, s2, v0
	v_mul_lo_u32 v6, s5, v0
	v_mul_lo_u32 v3, s2, v1
	s_delay_alu instid0(VALU_DEP_1) | instskip(SKIP_1) | instid1(VALU_DEP_2)
	v_add_nc_u32_e32 v2, v2, v3
	v_mul_lo_u32 v3, s2, v0
	v_add_nc_u32_e32 v2, v2, v6
	s_delay_alu instid0(VALU_DEP_2) | instskip(NEXT) | instid1(VALU_DEP_2)
	v_mul_hi_u32 v6, v0, v3
	v_mul_lo_u32 v7, v0, v2
	v_mul_hi_u32 v8, v0, v2
	v_mul_hi_u32 v9, v1, v3
	v_mul_lo_u32 v3, v1, v3
	v_mul_hi_u32 v11, v1, v2
	v_mul_lo_u32 v2, v1, v2
	v_add_co_u32 v6, vcc_lo, v6, v7
	v_add_co_ci_u32_e32 v7, vcc_lo, 0, v8, vcc_lo
	s_delay_alu instid0(VALU_DEP_2) | instskip(NEXT) | instid1(VALU_DEP_2)
	v_add_co_u32 v3, vcc_lo, v6, v3
	v_add_co_ci_u32_e32 v3, vcc_lo, v7, v9, vcc_lo
	v_add_co_ci_u32_e32 v6, vcc_lo, 0, v11, vcc_lo
	v_add_co_u32 v7, vcc_lo, v4, v10
	v_add_co_ci_u32_e32 v8, vcc_lo, v5, v10, vcc_lo
	s_delay_alu instid0(VALU_DEP_4) | instskip(NEXT) | instid1(VALU_DEP_4)
	v_add_co_u32 v2, vcc_lo, v3, v2
	v_add_co_ci_u32_e32 v3, vcc_lo, 0, v6, vcc_lo
	s_delay_alu instid0(VALU_DEP_4) | instskip(NEXT) | instid1(VALU_DEP_3)
	v_xor_b32_e32 v9, v7, v10
	v_add_co_u32 v6, vcc_lo, v0, v2
	s_delay_alu instid0(VALU_DEP_3) | instskip(SKIP_1) | instid1(VALU_DEP_3)
	v_add_co_ci_u32_e32 v11, vcc_lo, v1, v3, vcc_lo
	v_xor_b32_e32 v8, v8, v10
	v_mul_hi_u32 v12, v9, v6
	s_delay_alu instid0(VALU_DEP_3) | instskip(NEXT) | instid1(VALU_DEP_3)
	v_mad_u64_u32 v[0:1], null, v9, v11, 0
	v_mad_u64_u32 v[2:3], null, v8, v6, 0
	;; [unrolled: 1-line block ×3, first 2 shown]
	s_delay_alu instid0(VALU_DEP_3) | instskip(NEXT) | instid1(VALU_DEP_4)
	v_add_co_u32 v0, vcc_lo, v12, v0
	v_add_co_ci_u32_e32 v1, vcc_lo, 0, v1, vcc_lo
	s_delay_alu instid0(VALU_DEP_2) | instskip(NEXT) | instid1(VALU_DEP_2)
	v_add_co_u32 v0, vcc_lo, v0, v2
	v_add_co_ci_u32_e32 v0, vcc_lo, v1, v3, vcc_lo
	v_add_co_ci_u32_e32 v1, vcc_lo, 0, v7, vcc_lo
	s_delay_alu instid0(VALU_DEP_2) | instskip(NEXT) | instid1(VALU_DEP_2)
	v_add_co_u32 v2, vcc_lo, v0, v6
	v_add_co_ci_u32_e32 v3, vcc_lo, 0, v1, vcc_lo
	s_delay_alu instid0(VALU_DEP_2) | instskip(SKIP_1) | instid1(VALU_DEP_3)
	v_mul_lo_u32 v6, s7, v2
	v_mad_u64_u32 v[0:1], null, s6, v2, 0
	v_mul_lo_u32 v7, s6, v3
	s_delay_alu instid0(VALU_DEP_2) | instskip(NEXT) | instid1(VALU_DEP_2)
	v_sub_co_u32 v0, vcc_lo, v9, v0
	v_add3_u32 v1, v1, v7, v6
	s_delay_alu instid0(VALU_DEP_1) | instskip(NEXT) | instid1(VALU_DEP_1)
	v_sub_nc_u32_e32 v6, v8, v1
	v_subrev_co_ci_u32_e64 v6, s2, s7, v6, vcc_lo
	v_add_co_u32 v7, s2, v2, 2
	s_delay_alu instid0(VALU_DEP_1) | instskip(SKIP_3) | instid1(VALU_DEP_3)
	v_add_co_ci_u32_e64 v9, s2, 0, v3, s2
	v_sub_co_u32 v11, s2, v0, s6
	v_sub_co_ci_u32_e32 v1, vcc_lo, v8, v1, vcc_lo
	v_subrev_co_ci_u32_e64 v6, s2, 0, v6, s2
	v_cmp_le_u32_e32 vcc_lo, s6, v11
	s_delay_alu instid0(VALU_DEP_3) | instskip(SKIP_1) | instid1(VALU_DEP_4)
	v_cmp_eq_u32_e64 s2, s7, v1
	v_cndmask_b32_e64 v8, 0, -1, vcc_lo
	v_cmp_le_u32_e32 vcc_lo, s7, v6
	v_cndmask_b32_e64 v11, 0, -1, vcc_lo
	v_cmp_le_u32_e32 vcc_lo, s6, v0
	;; [unrolled: 2-line block ×3, first 2 shown]
	v_cndmask_b32_e64 v12, 0, -1, vcc_lo
	v_cmp_eq_u32_e32 vcc_lo, s7, v6
	s_delay_alu instid0(VALU_DEP_2) | instskip(SKIP_3) | instid1(VALU_DEP_3)
	v_cndmask_b32_e64 v0, v12, v0, s2
	v_cndmask_b32_e32 v6, v11, v8, vcc_lo
	v_add_co_u32 v8, vcc_lo, v2, 1
	v_add_co_ci_u32_e32 v11, vcc_lo, 0, v3, vcc_lo
	v_cmp_ne_u32_e32 vcc_lo, 0, v6
	s_delay_alu instid0(VALU_DEP_2) | instskip(SKIP_2) | instid1(VALU_DEP_3)
	v_dual_cndmask_b32 v1, v11, v9 :: v_dual_cndmask_b32 v6, v8, v7
	v_cmp_ne_u32_e32 vcc_lo, 0, v0
	v_xor_b32_e32 v7, s4, v10
	v_dual_cndmask_b32 v0, v3, v1 :: v_dual_cndmask_b32 v1, v2, v6
	s_delay_alu instid0(VALU_DEP_1) | instskip(NEXT) | instid1(VALU_DEP_2)
	v_xor_b32_e32 v2, v0, v7
	v_xor_b32_e32 v1, v1, v7
	s_delay_alu instid0(VALU_DEP_1) | instskip(NEXT) | instid1(VALU_DEP_3)
	v_sub_co_u32 v0, vcc_lo, v1, v7
	v_sub_co_ci_u32_e32 v1, vcc_lo, v2, v7, vcc_lo
.LBB32_3:
	s_and_not1_saveexec_b32 s2, s11
	s_cbranch_execz .LBB32_5
; %bb.4:
	v_cvt_f32_u32_e32 v0, s10
	s_sub_i32 s4, 0, s10
	s_delay_alu instid0(VALU_DEP_1) | instskip(SKIP_2) | instid1(VALU_DEP_1)
	v_rcp_iflag_f32_e32 v0, v0
	s_waitcnt_depctr 0xfff
	v_mul_f32_e32 v0, 0x4f7ffffe, v0
	v_cvt_u32_f32_e32 v0, v0
	s_delay_alu instid0(VALU_DEP_1) | instskip(NEXT) | instid1(VALU_DEP_1)
	v_mul_lo_u32 v1, s4, v0
	v_mul_hi_u32 v1, v0, v1
	s_delay_alu instid0(VALU_DEP_1) | instskip(NEXT) | instid1(VALU_DEP_1)
	v_add_nc_u32_e32 v0, v0, v1
	v_mul_hi_u32 v0, v4, v0
	s_delay_alu instid0(VALU_DEP_1) | instskip(SKIP_1) | instid1(VALU_DEP_2)
	v_mul_lo_u32 v1, v0, s10
	v_add_nc_u32_e32 v2, 1, v0
	v_sub_nc_u32_e32 v1, v4, v1
	s_delay_alu instid0(VALU_DEP_1) | instskip(SKIP_1) | instid1(VALU_DEP_2)
	v_subrev_nc_u32_e32 v3, s10, v1
	v_cmp_le_u32_e32 vcc_lo, s10, v1
	v_dual_cndmask_b32 v1, v1, v3 :: v_dual_cndmask_b32 v0, v0, v2
	s_delay_alu instid0(VALU_DEP_1) | instskip(NEXT) | instid1(VALU_DEP_2)
	v_cmp_le_u32_e32 vcc_lo, s10, v1
	v_dual_mov_b32 v1, 0 :: v_dual_add_nc_u32 v2, 1, v0
	s_delay_alu instid0(VALU_DEP_1)
	v_cndmask_b32_e32 v0, v0, v2, vcc_lo
.LBB32_5:
	s_or_b32 exec_lo, exec_lo, s2
	s_delay_alu instid0(VALU_DEP_1) | instskip(NEXT) | instid1(VALU_DEP_2)
	v_mul_lo_u32 v6, s9, v0
	v_mul_lo_u32 v7, s10, v1
	v_mad_u64_u32 v[2:3], null, s10, v0, 0
	s_delay_alu instid0(VALU_DEP_1) | instskip(NEXT) | instid1(VALU_DEP_2)
	v_add3_u32 v3, v3, v7, v6
	v_sub_co_u32 v6, vcc_lo, v4, v2
	v_mov_b32_e32 v2, 0
	s_delay_alu instid0(VALU_DEP_3) | instskip(NEXT) | instid1(VALU_DEP_1)
	v_sub_co_ci_u32_e32 v7, vcc_lo, v5, v3, vcc_lo
	v_or_b32_e32 v3, s8, v7
	s_delay_alu instid0(VALU_DEP_1) | instskip(SKIP_1) | instid1(SALU_CYCLE_1)
	v_cmp_ne_u64_e32 vcc_lo, 0, v[2:3]
                                        ; implicit-def: $vgpr2_vgpr3
	s_and_saveexec_b32 s2, vcc_lo
	s_xor_b32 s9, exec_lo, s2
	s_cbranch_execz .LBB32_7
; %bb.6:
	s_ashr_i32 s4, s8, 31
	s_delay_alu instid0(SALU_CYCLE_1) | instskip(SKIP_2) | instid1(SALU_CYCLE_1)
	s_add_u32 s6, s3, s4
	s_mov_b32 s5, s4
	s_addc_u32 s7, s8, s4
	s_xor_b64 s[6:7], s[6:7], s[4:5]
	s_delay_alu instid0(SALU_CYCLE_1) | instskip(SKIP_3) | instid1(VALU_DEP_1)
	v_cvt_f32_u32_e32 v2, s6
	v_cvt_f32_u32_e32 v3, s7
	s_sub_u32 s2, 0, s6
	s_subb_u32 s5, 0, s7
	v_fmamk_f32 v2, v3, 0x4f800000, v2
	s_delay_alu instid0(VALU_DEP_1) | instskip(SKIP_2) | instid1(VALU_DEP_1)
	v_rcp_f32_e32 v2, v2
	s_waitcnt_depctr 0xfff
	v_mul_f32_e32 v2, 0x5f7ffffc, v2
	v_mul_f32_e32 v3, 0x2f800000, v2
	s_delay_alu instid0(VALU_DEP_1) | instskip(NEXT) | instid1(VALU_DEP_1)
	v_trunc_f32_e32 v3, v3
	v_fmamk_f32 v2, v3, 0xcf800000, v2
	v_cvt_u32_f32_e32 v3, v3
	s_delay_alu instid0(VALU_DEP_2) | instskip(NEXT) | instid1(VALU_DEP_2)
	v_cvt_u32_f32_e32 v2, v2
	v_mul_lo_u32 v8, s2, v3
	s_delay_alu instid0(VALU_DEP_2) | instskip(SKIP_1) | instid1(VALU_DEP_2)
	v_mul_hi_u32 v9, s2, v2
	v_mul_lo_u32 v11, s5, v2
	v_add_nc_u32_e32 v8, v9, v8
	v_mul_lo_u32 v9, s2, v2
	s_delay_alu instid0(VALU_DEP_2) | instskip(NEXT) | instid1(VALU_DEP_2)
	v_add_nc_u32_e32 v8, v8, v11
	v_mul_hi_u32 v11, v2, v9
	s_delay_alu instid0(VALU_DEP_2)
	v_mul_lo_u32 v12, v2, v8
	v_mul_hi_u32 v13, v2, v8
	v_mul_hi_u32 v14, v3, v9
	v_mul_lo_u32 v9, v3, v9
	v_mul_hi_u32 v15, v3, v8
	v_mul_lo_u32 v8, v3, v8
	v_add_co_u32 v11, vcc_lo, v11, v12
	v_add_co_ci_u32_e32 v12, vcc_lo, 0, v13, vcc_lo
	s_delay_alu instid0(VALU_DEP_2) | instskip(NEXT) | instid1(VALU_DEP_2)
	v_add_co_u32 v9, vcc_lo, v11, v9
	v_add_co_ci_u32_e32 v9, vcc_lo, v12, v14, vcc_lo
	v_add_co_ci_u32_e32 v11, vcc_lo, 0, v15, vcc_lo
	v_ashrrev_i32_e32 v14, 31, v7
	s_delay_alu instid0(VALU_DEP_3) | instskip(NEXT) | instid1(VALU_DEP_3)
	v_add_co_u32 v8, vcc_lo, v9, v8
	v_add_co_ci_u32_e32 v9, vcc_lo, 0, v11, vcc_lo
	s_delay_alu instid0(VALU_DEP_2) | instskip(NEXT) | instid1(VALU_DEP_2)
	v_add_co_u32 v2, vcc_lo, v2, v8
	v_add_co_ci_u32_e32 v3, vcc_lo, v3, v9, vcc_lo
	s_delay_alu instid0(VALU_DEP_2) | instskip(SKIP_1) | instid1(VALU_DEP_3)
	v_mul_hi_u32 v8, s2, v2
	v_mul_lo_u32 v11, s5, v2
	v_mul_lo_u32 v9, s2, v3
	s_delay_alu instid0(VALU_DEP_1) | instskip(SKIP_1) | instid1(VALU_DEP_2)
	v_add_nc_u32_e32 v8, v8, v9
	v_mul_lo_u32 v9, s2, v2
	v_add_nc_u32_e32 v8, v8, v11
	s_delay_alu instid0(VALU_DEP_2) | instskip(NEXT) | instid1(VALU_DEP_2)
	v_mul_hi_u32 v11, v2, v9
	v_mul_lo_u32 v12, v2, v8
	v_mul_hi_u32 v13, v2, v8
	v_mul_hi_u32 v15, v3, v9
	v_mul_lo_u32 v9, v3, v9
	v_mul_hi_u32 v16, v3, v8
	v_mul_lo_u32 v8, v3, v8
	v_add_co_u32 v11, vcc_lo, v11, v12
	v_add_co_ci_u32_e32 v12, vcc_lo, 0, v13, vcc_lo
	s_delay_alu instid0(VALU_DEP_2) | instskip(NEXT) | instid1(VALU_DEP_2)
	v_add_co_u32 v9, vcc_lo, v11, v9
	v_add_co_ci_u32_e32 v9, vcc_lo, v12, v15, vcc_lo
	v_add_co_ci_u32_e32 v11, vcc_lo, 0, v16, vcc_lo
	v_add_co_u32 v12, vcc_lo, v6, v14
	v_add_co_ci_u32_e32 v13, vcc_lo, v7, v14, vcc_lo
	s_delay_alu instid0(VALU_DEP_4) | instskip(NEXT) | instid1(VALU_DEP_4)
	v_add_co_u32 v8, vcc_lo, v9, v8
	v_add_co_ci_u32_e32 v9, vcc_lo, 0, v11, vcc_lo
	s_delay_alu instid0(VALU_DEP_4) | instskip(NEXT) | instid1(VALU_DEP_3)
	v_xor_b32_e32 v15, v12, v14
	v_add_co_u32 v11, vcc_lo, v2, v8
	s_delay_alu instid0(VALU_DEP_3) | instskip(SKIP_1) | instid1(VALU_DEP_3)
	v_add_co_ci_u32_e32 v16, vcc_lo, v3, v9, vcc_lo
	v_xor_b32_e32 v13, v13, v14
	v_mul_hi_u32 v17, v15, v11
	s_delay_alu instid0(VALU_DEP_3) | instskip(NEXT) | instid1(VALU_DEP_3)
	v_mad_u64_u32 v[2:3], null, v15, v16, 0
	v_mad_u64_u32 v[8:9], null, v13, v11, 0
	;; [unrolled: 1-line block ×3, first 2 shown]
	s_delay_alu instid0(VALU_DEP_3) | instskip(NEXT) | instid1(VALU_DEP_4)
	v_add_co_u32 v2, vcc_lo, v17, v2
	v_add_co_ci_u32_e32 v3, vcc_lo, 0, v3, vcc_lo
	s_delay_alu instid0(VALU_DEP_2) | instskip(NEXT) | instid1(VALU_DEP_2)
	v_add_co_u32 v2, vcc_lo, v2, v8
	v_add_co_ci_u32_e32 v2, vcc_lo, v3, v9, vcc_lo
	v_add_co_ci_u32_e32 v3, vcc_lo, 0, v12, vcc_lo
	s_delay_alu instid0(VALU_DEP_2) | instskip(NEXT) | instid1(VALU_DEP_2)
	v_add_co_u32 v8, vcc_lo, v2, v11
	v_add_co_ci_u32_e32 v9, vcc_lo, 0, v3, vcc_lo
	s_delay_alu instid0(VALU_DEP_2) | instskip(SKIP_1) | instid1(VALU_DEP_3)
	v_mul_lo_u32 v11, s7, v8
	v_mad_u64_u32 v[2:3], null, s6, v8, 0
	v_mul_lo_u32 v12, s6, v9
	s_delay_alu instid0(VALU_DEP_2) | instskip(NEXT) | instid1(VALU_DEP_2)
	v_sub_co_u32 v2, vcc_lo, v15, v2
	v_add3_u32 v3, v3, v12, v11
	s_delay_alu instid0(VALU_DEP_1) | instskip(NEXT) | instid1(VALU_DEP_1)
	v_sub_nc_u32_e32 v11, v13, v3
	v_subrev_co_ci_u32_e64 v11, s2, s7, v11, vcc_lo
	v_add_co_u32 v12, s2, v8, 2
	s_delay_alu instid0(VALU_DEP_1) | instskip(SKIP_3) | instid1(VALU_DEP_3)
	v_add_co_ci_u32_e64 v15, s2, 0, v9, s2
	v_sub_co_u32 v16, s2, v2, s6
	v_sub_co_ci_u32_e32 v3, vcc_lo, v13, v3, vcc_lo
	v_subrev_co_ci_u32_e64 v11, s2, 0, v11, s2
	v_cmp_le_u32_e32 vcc_lo, s6, v16
	s_delay_alu instid0(VALU_DEP_3) | instskip(SKIP_1) | instid1(VALU_DEP_4)
	v_cmp_eq_u32_e64 s2, s7, v3
	v_cndmask_b32_e64 v13, 0, -1, vcc_lo
	v_cmp_le_u32_e32 vcc_lo, s7, v11
	v_cndmask_b32_e64 v16, 0, -1, vcc_lo
	v_cmp_le_u32_e32 vcc_lo, s6, v2
	;; [unrolled: 2-line block ×3, first 2 shown]
	v_cndmask_b32_e64 v17, 0, -1, vcc_lo
	v_cmp_eq_u32_e32 vcc_lo, s7, v11
	s_delay_alu instid0(VALU_DEP_2) | instskip(SKIP_3) | instid1(VALU_DEP_3)
	v_cndmask_b32_e64 v2, v17, v2, s2
	v_cndmask_b32_e32 v11, v16, v13, vcc_lo
	v_add_co_u32 v13, vcc_lo, v8, 1
	v_add_co_ci_u32_e32 v16, vcc_lo, 0, v9, vcc_lo
	v_cmp_ne_u32_e32 vcc_lo, 0, v11
	s_delay_alu instid0(VALU_DEP_3) | instskip(NEXT) | instid1(VALU_DEP_3)
	v_cndmask_b32_e32 v11, v13, v12, vcc_lo
	v_cndmask_b32_e32 v3, v16, v15, vcc_lo
	v_cmp_ne_u32_e32 vcc_lo, 0, v2
	v_xor_b32_e32 v12, s4, v14
	s_delay_alu instid0(VALU_DEP_3) | instskip(SKIP_1) | instid1(VALU_DEP_2)
	v_cndmask_b32_e32 v2, v9, v3, vcc_lo
	v_cndmask_b32_e32 v3, v8, v11, vcc_lo
	v_xor_b32_e32 v8, v2, v12
	s_delay_alu instid0(VALU_DEP_2) | instskip(NEXT) | instid1(VALU_DEP_1)
	v_xor_b32_e32 v3, v3, v12
	v_sub_co_u32 v2, vcc_lo, v3, v12
	s_delay_alu instid0(VALU_DEP_3)
	v_sub_co_ci_u32_e32 v3, vcc_lo, v8, v12, vcc_lo
.LBB32_7:
	s_and_not1_saveexec_b32 s2, s9
	s_cbranch_execz .LBB32_9
; %bb.8:
	v_cvt_f32_u32_e32 v2, s3
	s_sub_i32 s4, 0, s3
	s_delay_alu instid0(VALU_DEP_1) | instskip(SKIP_2) | instid1(VALU_DEP_1)
	v_rcp_iflag_f32_e32 v2, v2
	s_waitcnt_depctr 0xfff
	v_mul_f32_e32 v2, 0x4f7ffffe, v2
	v_cvt_u32_f32_e32 v2, v2
	s_delay_alu instid0(VALU_DEP_1) | instskip(NEXT) | instid1(VALU_DEP_1)
	v_mul_lo_u32 v3, s4, v2
	v_mul_hi_u32 v3, v2, v3
	s_delay_alu instid0(VALU_DEP_1) | instskip(NEXT) | instid1(VALU_DEP_1)
	v_add_nc_u32_e32 v2, v2, v3
	v_mul_hi_u32 v2, v6, v2
	s_delay_alu instid0(VALU_DEP_1) | instskip(SKIP_1) | instid1(VALU_DEP_2)
	v_mul_lo_u32 v3, v2, s3
	v_add_nc_u32_e32 v8, 1, v2
	v_sub_nc_u32_e32 v3, v6, v3
	s_delay_alu instid0(VALU_DEP_1) | instskip(SKIP_1) | instid1(VALU_DEP_2)
	v_subrev_nc_u32_e32 v9, s3, v3
	v_cmp_le_u32_e32 vcc_lo, s3, v3
	v_dual_cndmask_b32 v3, v3, v9 :: v_dual_cndmask_b32 v2, v2, v8
	s_delay_alu instid0(VALU_DEP_1) | instskip(NEXT) | instid1(VALU_DEP_2)
	v_cmp_le_u32_e32 vcc_lo, s3, v3
	v_dual_mov_b32 v3, 0 :: v_dual_add_nc_u32 v8, 1, v2
	s_delay_alu instid0(VALU_DEP_1)
	v_cndmask_b32_e32 v2, v2, v8, vcc_lo
.LBB32_9:
	s_or_b32 exec_lo, exec_lo, s2
	s_delay_alu instid0(VALU_DEP_1) | instskip(NEXT) | instid1(VALU_DEP_2)
	v_mul_lo_u32 v11, s8, v2
	v_mul_lo_u32 v12, s3, v3
	v_mad_u64_u32 v[8:9], null, s3, v2, 0
	s_delay_alu instid0(VALU_DEP_1) | instskip(NEXT) | instid1(VALU_DEP_2)
	v_add3_u32 v9, v9, v12, v11
	v_sub_co_u32 v12, vcc_lo, v6, v8
	v_mov_b32_e32 v6, 0
	s_delay_alu instid0(VALU_DEP_3) | instskip(NEXT) | instid1(VALU_DEP_1)
	v_sub_co_ci_u32_e32 v13, vcc_lo, v7, v9, vcc_lo
	v_or_b32_e32 v7, s23, v13
	s_delay_alu instid0(VALU_DEP_1) | instskip(SKIP_1) | instid1(SALU_CYCLE_1)
	v_cmp_ne_u64_e32 vcc_lo, 0, v[6:7]
                                        ; implicit-def: $vgpr6_vgpr7
	s_and_saveexec_b32 s2, vcc_lo
	s_xor_b32 s3, exec_lo, s2
	s_cbranch_execz .LBB32_11
; %bb.10:
	s_ashr_i32 s4, s23, 31
	s_delay_alu instid0(SALU_CYCLE_1) | instskip(SKIP_2) | instid1(SALU_CYCLE_1)
	s_add_u32 s6, s22, s4
	s_mov_b32 s5, s4
	s_addc_u32 s7, s23, s4
	s_xor_b64 s[6:7], s[6:7], s[4:5]
	s_delay_alu instid0(SALU_CYCLE_1) | instskip(SKIP_3) | instid1(VALU_DEP_1)
	v_cvt_f32_u32_e32 v6, s6
	v_cvt_f32_u32_e32 v7, s7
	s_sub_u32 s2, 0, s6
	s_subb_u32 s5, 0, s7
	v_fmamk_f32 v6, v7, 0x4f800000, v6
	s_delay_alu instid0(VALU_DEP_1) | instskip(SKIP_2) | instid1(VALU_DEP_1)
	v_rcp_f32_e32 v6, v6
	s_waitcnt_depctr 0xfff
	v_mul_f32_e32 v6, 0x5f7ffffc, v6
	v_mul_f32_e32 v7, 0x2f800000, v6
	s_delay_alu instid0(VALU_DEP_1) | instskip(NEXT) | instid1(VALU_DEP_1)
	v_trunc_f32_e32 v7, v7
	v_fmamk_f32 v6, v7, 0xcf800000, v6
	v_cvt_u32_f32_e32 v7, v7
	s_delay_alu instid0(VALU_DEP_2) | instskip(NEXT) | instid1(VALU_DEP_2)
	v_cvt_u32_f32_e32 v6, v6
	v_mul_lo_u32 v8, s2, v7
	s_delay_alu instid0(VALU_DEP_2) | instskip(SKIP_1) | instid1(VALU_DEP_2)
	v_mul_hi_u32 v9, s2, v6
	v_mul_lo_u32 v11, s5, v6
	v_add_nc_u32_e32 v8, v9, v8
	v_mul_lo_u32 v9, s2, v6
	s_delay_alu instid0(VALU_DEP_2) | instskip(NEXT) | instid1(VALU_DEP_2)
	v_add_nc_u32_e32 v8, v8, v11
	v_mul_hi_u32 v11, v6, v9
	s_delay_alu instid0(VALU_DEP_2)
	v_mul_lo_u32 v14, v6, v8
	v_mul_hi_u32 v15, v6, v8
	v_mul_hi_u32 v16, v7, v9
	v_mul_lo_u32 v9, v7, v9
	v_mul_hi_u32 v17, v7, v8
	v_mul_lo_u32 v8, v7, v8
	v_add_co_u32 v11, vcc_lo, v11, v14
	v_add_co_ci_u32_e32 v14, vcc_lo, 0, v15, vcc_lo
	s_delay_alu instid0(VALU_DEP_2) | instskip(NEXT) | instid1(VALU_DEP_2)
	v_add_co_u32 v9, vcc_lo, v11, v9
	v_add_co_ci_u32_e32 v9, vcc_lo, v14, v16, vcc_lo
	v_add_co_ci_u32_e32 v11, vcc_lo, 0, v17, vcc_lo
	v_ashrrev_i32_e32 v16, 31, v13
	s_delay_alu instid0(VALU_DEP_3) | instskip(NEXT) | instid1(VALU_DEP_3)
	v_add_co_u32 v8, vcc_lo, v9, v8
	v_add_co_ci_u32_e32 v9, vcc_lo, 0, v11, vcc_lo
	s_delay_alu instid0(VALU_DEP_2) | instskip(NEXT) | instid1(VALU_DEP_2)
	v_add_co_u32 v6, vcc_lo, v6, v8
	v_add_co_ci_u32_e32 v7, vcc_lo, v7, v9, vcc_lo
	s_delay_alu instid0(VALU_DEP_2) | instskip(SKIP_1) | instid1(VALU_DEP_3)
	v_mul_hi_u32 v8, s2, v6
	v_mul_lo_u32 v11, s5, v6
	v_mul_lo_u32 v9, s2, v7
	s_delay_alu instid0(VALU_DEP_1) | instskip(SKIP_1) | instid1(VALU_DEP_2)
	v_add_nc_u32_e32 v8, v8, v9
	v_mul_lo_u32 v9, s2, v6
	v_add_nc_u32_e32 v8, v8, v11
	s_delay_alu instid0(VALU_DEP_2) | instskip(NEXT) | instid1(VALU_DEP_2)
	v_mul_hi_u32 v11, v6, v9
	v_mul_lo_u32 v14, v6, v8
	v_mul_hi_u32 v15, v6, v8
	v_mul_hi_u32 v17, v7, v9
	v_mul_lo_u32 v9, v7, v9
	v_mul_hi_u32 v18, v7, v8
	v_mul_lo_u32 v8, v7, v8
	v_add_co_u32 v11, vcc_lo, v11, v14
	v_add_co_ci_u32_e32 v14, vcc_lo, 0, v15, vcc_lo
	s_delay_alu instid0(VALU_DEP_2) | instskip(NEXT) | instid1(VALU_DEP_2)
	v_add_co_u32 v9, vcc_lo, v11, v9
	v_add_co_ci_u32_e32 v9, vcc_lo, v14, v17, vcc_lo
	v_add_co_ci_u32_e32 v11, vcc_lo, 0, v18, vcc_lo
	v_add_co_u32 v14, vcc_lo, v12, v16
	v_add_co_ci_u32_e32 v15, vcc_lo, v13, v16, vcc_lo
	s_delay_alu instid0(VALU_DEP_4) | instskip(NEXT) | instid1(VALU_DEP_4)
	v_add_co_u32 v8, vcc_lo, v9, v8
	v_add_co_ci_u32_e32 v9, vcc_lo, 0, v11, vcc_lo
	s_delay_alu instid0(VALU_DEP_4) | instskip(NEXT) | instid1(VALU_DEP_3)
	v_xor_b32_e32 v11, v14, v16
	v_add_co_u32 v14, vcc_lo, v6, v8
	s_delay_alu instid0(VALU_DEP_3) | instskip(SKIP_1) | instid1(VALU_DEP_3)
	v_add_co_ci_u32_e32 v17, vcc_lo, v7, v9, vcc_lo
	v_xor_b32_e32 v18, v15, v16
	v_mul_hi_u32 v19, v11, v14
	s_delay_alu instid0(VALU_DEP_3) | instskip(NEXT) | instid1(VALU_DEP_3)
	v_mad_u64_u32 v[6:7], null, v11, v17, 0
	v_mad_u64_u32 v[8:9], null, v18, v14, 0
	;; [unrolled: 1-line block ×3, first 2 shown]
	s_delay_alu instid0(VALU_DEP_3) | instskip(NEXT) | instid1(VALU_DEP_4)
	v_add_co_u32 v6, vcc_lo, v19, v6
	v_add_co_ci_u32_e32 v7, vcc_lo, 0, v7, vcc_lo
	s_delay_alu instid0(VALU_DEP_2) | instskip(NEXT) | instid1(VALU_DEP_2)
	v_add_co_u32 v6, vcc_lo, v6, v8
	v_add_co_ci_u32_e32 v6, vcc_lo, v7, v9, vcc_lo
	v_add_co_ci_u32_e32 v7, vcc_lo, 0, v15, vcc_lo
	s_delay_alu instid0(VALU_DEP_2) | instskip(NEXT) | instid1(VALU_DEP_2)
	v_add_co_u32 v8, vcc_lo, v6, v14
	v_add_co_ci_u32_e32 v9, vcc_lo, 0, v7, vcc_lo
	s_delay_alu instid0(VALU_DEP_2) | instskip(SKIP_1) | instid1(VALU_DEP_3)
	v_mul_lo_u32 v14, s7, v8
	v_mad_u64_u32 v[6:7], null, s6, v8, 0
	v_mul_lo_u32 v15, s6, v9
	s_delay_alu instid0(VALU_DEP_2) | instskip(NEXT) | instid1(VALU_DEP_2)
	v_sub_co_u32 v6, vcc_lo, v11, v6
	v_add3_u32 v7, v7, v15, v14
	s_delay_alu instid0(VALU_DEP_1) | instskip(NEXT) | instid1(VALU_DEP_1)
	v_sub_nc_u32_e32 v14, v18, v7
	v_subrev_co_ci_u32_e64 v11, s2, s7, v14, vcc_lo
	v_add_co_u32 v14, s2, v8, 2
	s_delay_alu instid0(VALU_DEP_1) | instskip(SKIP_3) | instid1(VALU_DEP_3)
	v_add_co_ci_u32_e64 v15, s2, 0, v9, s2
	v_sub_co_u32 v17, s2, v6, s6
	v_sub_co_ci_u32_e32 v7, vcc_lo, v18, v7, vcc_lo
	v_subrev_co_ci_u32_e64 v11, s2, 0, v11, s2
	v_cmp_le_u32_e32 vcc_lo, s6, v17
	s_delay_alu instid0(VALU_DEP_3) | instskip(SKIP_1) | instid1(VALU_DEP_4)
	v_cmp_eq_u32_e64 s2, s7, v7
	v_cndmask_b32_e64 v17, 0, -1, vcc_lo
	v_cmp_le_u32_e32 vcc_lo, s7, v11
	v_cndmask_b32_e64 v18, 0, -1, vcc_lo
	v_cmp_le_u32_e32 vcc_lo, s6, v6
	;; [unrolled: 2-line block ×3, first 2 shown]
	v_cndmask_b32_e64 v19, 0, -1, vcc_lo
	v_cmp_eq_u32_e32 vcc_lo, s7, v11
	s_delay_alu instid0(VALU_DEP_2) | instskip(SKIP_3) | instid1(VALU_DEP_3)
	v_cndmask_b32_e64 v6, v19, v6, s2
	v_cndmask_b32_e32 v11, v18, v17, vcc_lo
	v_add_co_u32 v17, vcc_lo, v8, 1
	v_add_co_ci_u32_e32 v18, vcc_lo, 0, v9, vcc_lo
	v_cmp_ne_u32_e32 vcc_lo, 0, v11
	s_delay_alu instid0(VALU_DEP_3) | instskip(NEXT) | instid1(VALU_DEP_3)
	v_cndmask_b32_e32 v11, v17, v14, vcc_lo
	v_cndmask_b32_e32 v7, v18, v15, vcc_lo
	v_cmp_ne_u32_e32 vcc_lo, 0, v6
	v_xor_b32_e32 v14, s4, v16
	s_delay_alu instid0(VALU_DEP_3) | instskip(SKIP_1) | instid1(VALU_DEP_2)
	v_cndmask_b32_e32 v6, v9, v7, vcc_lo
	v_cndmask_b32_e32 v7, v8, v11, vcc_lo
	v_xor_b32_e32 v8, v6, v14
	s_delay_alu instid0(VALU_DEP_2) | instskip(NEXT) | instid1(VALU_DEP_1)
	v_xor_b32_e32 v7, v7, v14
	v_sub_co_u32 v6, vcc_lo, v7, v14
	s_delay_alu instid0(VALU_DEP_3)
	v_sub_co_ci_u32_e32 v7, vcc_lo, v8, v14, vcc_lo
.LBB32_11:
	s_and_not1_saveexec_b32 s2, s3
	s_cbranch_execz .LBB32_13
; %bb.12:
	v_cvt_f32_u32_e32 v6, s22
	s_sub_i32 s3, 0, s22
	s_delay_alu instid0(VALU_DEP_1) | instskip(SKIP_2) | instid1(VALU_DEP_1)
	v_rcp_iflag_f32_e32 v6, v6
	s_waitcnt_depctr 0xfff
	v_mul_f32_e32 v6, 0x4f7ffffe, v6
	v_cvt_u32_f32_e32 v6, v6
	s_delay_alu instid0(VALU_DEP_1) | instskip(NEXT) | instid1(VALU_DEP_1)
	v_mul_lo_u32 v7, s3, v6
	v_mul_hi_u32 v7, v6, v7
	s_delay_alu instid0(VALU_DEP_1) | instskip(NEXT) | instid1(VALU_DEP_1)
	v_add_nc_u32_e32 v6, v6, v7
	v_mul_hi_u32 v6, v12, v6
	s_delay_alu instid0(VALU_DEP_1) | instskip(SKIP_1) | instid1(VALU_DEP_2)
	v_mul_lo_u32 v7, v6, s22
	v_add_nc_u32_e32 v8, 1, v6
	v_sub_nc_u32_e32 v7, v12, v7
	s_delay_alu instid0(VALU_DEP_1) | instskip(SKIP_1) | instid1(VALU_DEP_2)
	v_subrev_nc_u32_e32 v9, s22, v7
	v_cmp_le_u32_e32 vcc_lo, s22, v7
	v_dual_cndmask_b32 v7, v7, v9 :: v_dual_cndmask_b32 v6, v6, v8
	s_delay_alu instid0(VALU_DEP_1) | instskip(NEXT) | instid1(VALU_DEP_2)
	v_cmp_le_u32_e32 vcc_lo, s22, v7
	v_dual_mov_b32 v7, 0 :: v_dual_add_nc_u32 v8, 1, v6
	s_delay_alu instid0(VALU_DEP_1)
	v_cndmask_b32_e32 v6, v6, v8, vcc_lo
.LBB32_13:
	s_or_b32 exec_lo, exec_lo, s2
	s_load_b512 s[36:51], s[0:1], 0x40
	v_mov_b32_e32 v8, 0
	s_waitcnt lgkmcnt(0)
	s_mul_i32 s2, s42, s41
	s_mul_hi_u32 s4, s42, s40
	s_mul_i32 s5, s43, s40
	s_mul_i32 s3, s42, s40
	s_add_i32 s8, s4, s2
	s_mul_i32 s2, s3, s45
	s_mul_hi_u32 s4, s3, s44
	s_add_i32 s8, s8, s5
	s_add_i32 s2, s4, s2
	s_mul_i32 s4, s8, s44
	s_mul_i32 s10, s3, s44
	s_add_i32 s9, s2, s4
	s_delay_alu instid0(SALU_CYCLE_1) | instskip(NEXT) | instid1(VALU_DEP_1)
	v_or_b32_e32 v9, s9, v5
	v_cmp_ne_u64_e32 vcc_lo, 0, v[8:9]
                                        ; implicit-def: $vgpr8_vgpr9
	s_and_saveexec_b32 s2, vcc_lo
	s_delay_alu instid0(SALU_CYCLE_1)
	s_xor_b32 s11, exec_lo, s2
	s_cbranch_execz .LBB32_15
; %bb.14:
	s_ashr_i32 s4, s9, 31
	s_delay_alu instid0(SALU_CYCLE_1) | instskip(SKIP_2) | instid1(SALU_CYCLE_1)
	s_add_u32 s6, s10, s4
	s_mov_b32 s5, s4
	s_addc_u32 s7, s9, s4
	s_xor_b64 s[6:7], s[6:7], s[4:5]
	s_delay_alu instid0(SALU_CYCLE_1) | instskip(SKIP_3) | instid1(VALU_DEP_1)
	v_cvt_f32_u32_e32 v8, s6
	v_cvt_f32_u32_e32 v9, s7
	s_sub_u32 s2, 0, s6
	s_subb_u32 s5, 0, s7
	v_fmamk_f32 v8, v9, 0x4f800000, v8
	s_delay_alu instid0(VALU_DEP_1) | instskip(SKIP_2) | instid1(VALU_DEP_1)
	v_rcp_f32_e32 v8, v8
	s_waitcnt_depctr 0xfff
	v_mul_f32_e32 v8, 0x5f7ffffc, v8
	v_mul_f32_e32 v9, 0x2f800000, v8
	s_delay_alu instid0(VALU_DEP_1) | instskip(NEXT) | instid1(VALU_DEP_1)
	v_trunc_f32_e32 v9, v9
	v_fmamk_f32 v8, v9, 0xcf800000, v8
	v_cvt_u32_f32_e32 v9, v9
	s_delay_alu instid0(VALU_DEP_2) | instskip(NEXT) | instid1(VALU_DEP_2)
	v_cvt_u32_f32_e32 v8, v8
	v_mul_lo_u32 v11, s2, v9
	s_delay_alu instid0(VALU_DEP_2) | instskip(SKIP_1) | instid1(VALU_DEP_2)
	v_mul_hi_u32 v14, s2, v8
	v_mul_lo_u32 v15, s5, v8
	v_add_nc_u32_e32 v11, v14, v11
	v_mul_lo_u32 v14, s2, v8
	s_delay_alu instid0(VALU_DEP_2) | instskip(NEXT) | instid1(VALU_DEP_2)
	v_add_nc_u32_e32 v11, v11, v15
	v_mul_hi_u32 v15, v8, v14
	s_delay_alu instid0(VALU_DEP_2)
	v_mul_lo_u32 v16, v8, v11
	v_mul_hi_u32 v17, v8, v11
	v_mul_hi_u32 v18, v9, v14
	v_mul_lo_u32 v14, v9, v14
	v_mul_hi_u32 v19, v9, v11
	v_mul_lo_u32 v11, v9, v11
	v_add_co_u32 v15, vcc_lo, v15, v16
	v_add_co_ci_u32_e32 v16, vcc_lo, 0, v17, vcc_lo
	s_delay_alu instid0(VALU_DEP_2) | instskip(NEXT) | instid1(VALU_DEP_2)
	v_add_co_u32 v14, vcc_lo, v15, v14
	v_add_co_ci_u32_e32 v14, vcc_lo, v16, v18, vcc_lo
	v_add_co_ci_u32_e32 v15, vcc_lo, 0, v19, vcc_lo
	s_delay_alu instid0(VALU_DEP_2) | instskip(NEXT) | instid1(VALU_DEP_2)
	v_add_co_u32 v11, vcc_lo, v14, v11
	v_add_co_ci_u32_e32 v14, vcc_lo, 0, v15, vcc_lo
	s_delay_alu instid0(VALU_DEP_2) | instskip(NEXT) | instid1(VALU_DEP_2)
	v_add_co_u32 v8, vcc_lo, v8, v11
	v_add_co_ci_u32_e32 v9, vcc_lo, v9, v14, vcc_lo
	s_delay_alu instid0(VALU_DEP_2) | instskip(SKIP_1) | instid1(VALU_DEP_3)
	v_mul_hi_u32 v11, s2, v8
	v_mul_lo_u32 v15, s5, v8
	v_mul_lo_u32 v14, s2, v9
	s_delay_alu instid0(VALU_DEP_1) | instskip(SKIP_1) | instid1(VALU_DEP_2)
	v_add_nc_u32_e32 v11, v11, v14
	v_mul_lo_u32 v14, s2, v8
	v_add_nc_u32_e32 v11, v11, v15
	s_delay_alu instid0(VALU_DEP_2) | instskip(NEXT) | instid1(VALU_DEP_2)
	v_mul_hi_u32 v15, v8, v14
	v_mul_lo_u32 v16, v8, v11
	v_mul_hi_u32 v17, v8, v11
	v_mul_hi_u32 v18, v9, v14
	v_mul_lo_u32 v14, v9, v14
	v_mul_hi_u32 v19, v9, v11
	v_mul_lo_u32 v11, v9, v11
	v_add_co_u32 v15, vcc_lo, v15, v16
	v_add_co_ci_u32_e32 v16, vcc_lo, 0, v17, vcc_lo
	s_delay_alu instid0(VALU_DEP_2) | instskip(NEXT) | instid1(VALU_DEP_2)
	v_add_co_u32 v14, vcc_lo, v15, v14
	v_add_co_ci_u32_e32 v14, vcc_lo, v16, v18, vcc_lo
	v_add_co_ci_u32_e32 v15, vcc_lo, 0, v19, vcc_lo
	v_add_co_u32 v16, vcc_lo, v4, v10
	v_add_co_ci_u32_e32 v17, vcc_lo, v5, v10, vcc_lo
	s_delay_alu instid0(VALU_DEP_4) | instskip(NEXT) | instid1(VALU_DEP_4)
	v_add_co_u32 v11, vcc_lo, v14, v11
	v_add_co_ci_u32_e32 v14, vcc_lo, 0, v15, vcc_lo
	s_delay_alu instid0(VALU_DEP_4) | instskip(NEXT) | instid1(VALU_DEP_3)
	v_xor_b32_e32 v18, v16, v10
	v_add_co_u32 v11, vcc_lo, v8, v11
	s_delay_alu instid0(VALU_DEP_3) | instskip(SKIP_1) | instid1(VALU_DEP_3)
	v_add_co_ci_u32_e32 v19, vcc_lo, v9, v14, vcc_lo
	v_xor_b32_e32 v20, v17, v10
	v_mul_hi_u32 v21, v18, v11
	v_xor_b32_e32 v10, s4, v10
	s_delay_alu instid0(VALU_DEP_4) | instskip(NEXT) | instid1(VALU_DEP_4)
	v_mad_u64_u32 v[8:9], null, v18, v19, 0
	v_mad_u64_u32 v[14:15], null, v20, v11, 0
	;; [unrolled: 1-line block ×3, first 2 shown]
	s_delay_alu instid0(VALU_DEP_3) | instskip(NEXT) | instid1(VALU_DEP_4)
	v_add_co_u32 v8, vcc_lo, v21, v8
	v_add_co_ci_u32_e32 v9, vcc_lo, 0, v9, vcc_lo
	s_delay_alu instid0(VALU_DEP_2) | instskip(NEXT) | instid1(VALU_DEP_2)
	v_add_co_u32 v8, vcc_lo, v8, v14
	v_add_co_ci_u32_e32 v8, vcc_lo, v9, v15, vcc_lo
	v_add_co_ci_u32_e32 v9, vcc_lo, 0, v17, vcc_lo
	s_delay_alu instid0(VALU_DEP_2) | instskip(NEXT) | instid1(VALU_DEP_2)
	v_add_co_u32 v11, vcc_lo, v8, v16
	v_add_co_ci_u32_e32 v14, vcc_lo, 0, v9, vcc_lo
	s_delay_alu instid0(VALU_DEP_2) | instskip(SKIP_1) | instid1(VALU_DEP_3)
	v_mul_lo_u32 v15, s7, v11
	v_mad_u64_u32 v[8:9], null, s6, v11, 0
	v_mul_lo_u32 v16, s6, v14
	s_delay_alu instid0(VALU_DEP_2) | instskip(NEXT) | instid1(VALU_DEP_2)
	v_sub_co_u32 v8, vcc_lo, v18, v8
	v_add3_u32 v9, v9, v16, v15
	s_delay_alu instid0(VALU_DEP_1) | instskip(NEXT) | instid1(VALU_DEP_1)
	v_sub_nc_u32_e32 v15, v20, v9
	v_subrev_co_ci_u32_e64 v15, s2, s7, v15, vcc_lo
	v_add_co_u32 v16, s2, v11, 2
	s_delay_alu instid0(VALU_DEP_1) | instskip(SKIP_3) | instid1(VALU_DEP_3)
	v_add_co_ci_u32_e64 v17, s2, 0, v14, s2
	v_sub_co_u32 v18, s2, v8, s6
	v_sub_co_ci_u32_e32 v9, vcc_lo, v20, v9, vcc_lo
	v_subrev_co_ci_u32_e64 v15, s2, 0, v15, s2
	v_cmp_le_u32_e32 vcc_lo, s6, v18
	s_delay_alu instid0(VALU_DEP_3) | instskip(SKIP_1) | instid1(VALU_DEP_4)
	v_cmp_eq_u32_e64 s2, s7, v9
	v_cndmask_b32_e64 v18, 0, -1, vcc_lo
	v_cmp_le_u32_e32 vcc_lo, s7, v15
	v_cndmask_b32_e64 v19, 0, -1, vcc_lo
	v_cmp_le_u32_e32 vcc_lo, s6, v8
	;; [unrolled: 2-line block ×3, first 2 shown]
	v_cndmask_b32_e64 v20, 0, -1, vcc_lo
	v_cmp_eq_u32_e32 vcc_lo, s7, v15
	s_delay_alu instid0(VALU_DEP_2) | instskip(SKIP_3) | instid1(VALU_DEP_3)
	v_cndmask_b32_e64 v8, v20, v8, s2
	v_cndmask_b32_e32 v15, v19, v18, vcc_lo
	v_add_co_u32 v18, vcc_lo, v11, 1
	v_add_co_ci_u32_e32 v19, vcc_lo, 0, v14, vcc_lo
	v_cmp_ne_u32_e32 vcc_lo, 0, v15
	s_delay_alu instid0(VALU_DEP_2) | instskip(NEXT) | instid1(VALU_DEP_4)
	v_cndmask_b32_e32 v9, v19, v17, vcc_lo
	v_cndmask_b32_e32 v15, v18, v16, vcc_lo
	v_cmp_ne_u32_e32 vcc_lo, 0, v8
	s_delay_alu instid0(VALU_DEP_2) | instskip(NEXT) | instid1(VALU_DEP_1)
	v_dual_cndmask_b32 v8, v14, v9 :: v_dual_cndmask_b32 v9, v11, v15
	v_xor_b32_e32 v11, v8, v10
	s_delay_alu instid0(VALU_DEP_2) | instskip(NEXT) | instid1(VALU_DEP_1)
	v_xor_b32_e32 v9, v9, v10
	v_sub_co_u32 v8, vcc_lo, v9, v10
	s_delay_alu instid0(VALU_DEP_3)
	v_sub_co_ci_u32_e32 v9, vcc_lo, v11, v10, vcc_lo
.LBB32_15:
	s_and_not1_saveexec_b32 s2, s11
	s_cbranch_execz .LBB32_17
; %bb.16:
	v_cvt_f32_u32_e32 v8, s10
	s_sub_i32 s4, 0, s10
	s_delay_alu instid0(VALU_DEP_1) | instskip(SKIP_2) | instid1(VALU_DEP_1)
	v_rcp_iflag_f32_e32 v8, v8
	s_waitcnt_depctr 0xfff
	v_mul_f32_e32 v8, 0x4f7ffffe, v8
	v_cvt_u32_f32_e32 v8, v8
	s_delay_alu instid0(VALU_DEP_1) | instskip(NEXT) | instid1(VALU_DEP_1)
	v_mul_lo_u32 v9, s4, v8
	v_mul_hi_u32 v9, v8, v9
	s_delay_alu instid0(VALU_DEP_1) | instskip(NEXT) | instid1(VALU_DEP_1)
	v_add_nc_u32_e32 v8, v8, v9
	v_mul_hi_u32 v8, v4, v8
	s_delay_alu instid0(VALU_DEP_1) | instskip(SKIP_1) | instid1(VALU_DEP_2)
	v_mul_lo_u32 v9, v8, s10
	v_add_nc_u32_e32 v10, 1, v8
	v_sub_nc_u32_e32 v9, v4, v9
	s_delay_alu instid0(VALU_DEP_1) | instskip(SKIP_1) | instid1(VALU_DEP_2)
	v_subrev_nc_u32_e32 v11, s10, v9
	v_cmp_le_u32_e32 vcc_lo, s10, v9
	v_dual_cndmask_b32 v9, v9, v11 :: v_dual_cndmask_b32 v8, v8, v10
	s_delay_alu instid0(VALU_DEP_1) | instskip(NEXT) | instid1(VALU_DEP_2)
	v_cmp_le_u32_e32 vcc_lo, s10, v9
	v_dual_mov_b32 v9, 0 :: v_dual_add_nc_u32 v10, 1, v8
	s_delay_alu instid0(VALU_DEP_1)
	v_cndmask_b32_e32 v8, v8, v10, vcc_lo
.LBB32_17:
	s_or_b32 exec_lo, exec_lo, s2
	s_delay_alu instid0(VALU_DEP_1) | instskip(NEXT) | instid1(VALU_DEP_2)
	v_mul_lo_u32 v14, s9, v8
	v_mul_lo_u32 v15, s10, v9
	v_mad_u64_u32 v[10:11], null, s10, v8, 0
	s_delay_alu instid0(VALU_DEP_1) | instskip(NEXT) | instid1(VALU_DEP_2)
	v_add3_u32 v11, v11, v15, v14
	v_sub_co_u32 v10, vcc_lo, v4, v10
	v_mov_b32_e32 v4, 0
	s_delay_alu instid0(VALU_DEP_3) | instskip(NEXT) | instid1(VALU_DEP_1)
	v_sub_co_ci_u32_e32 v11, vcc_lo, v5, v11, vcc_lo
	v_or_b32_e32 v5, s8, v11
	s_delay_alu instid0(VALU_DEP_1) | instskip(SKIP_1) | instid1(SALU_CYCLE_1)
	v_cmp_ne_u64_e32 vcc_lo, 0, v[4:5]
                                        ; implicit-def: $vgpr4_vgpr5
	s_and_saveexec_b32 s2, vcc_lo
	s_xor_b32 s9, exec_lo, s2
	s_cbranch_execz .LBB32_19
; %bb.18:
	s_ashr_i32 s4, s8, 31
	s_delay_alu instid0(SALU_CYCLE_1) | instskip(SKIP_2) | instid1(SALU_CYCLE_1)
	s_add_u32 s6, s3, s4
	s_mov_b32 s5, s4
	s_addc_u32 s7, s8, s4
	s_xor_b64 s[6:7], s[6:7], s[4:5]
	s_delay_alu instid0(SALU_CYCLE_1) | instskip(SKIP_3) | instid1(VALU_DEP_1)
	v_cvt_f32_u32_e32 v4, s6
	v_cvt_f32_u32_e32 v5, s7
	s_sub_u32 s2, 0, s6
	s_subb_u32 s5, 0, s7
	v_fmamk_f32 v4, v5, 0x4f800000, v4
	s_delay_alu instid0(VALU_DEP_1) | instskip(SKIP_2) | instid1(VALU_DEP_1)
	v_rcp_f32_e32 v4, v4
	s_waitcnt_depctr 0xfff
	v_mul_f32_e32 v4, 0x5f7ffffc, v4
	v_mul_f32_e32 v5, 0x2f800000, v4
	s_delay_alu instid0(VALU_DEP_1) | instskip(NEXT) | instid1(VALU_DEP_1)
	v_trunc_f32_e32 v5, v5
	v_fmamk_f32 v4, v5, 0xcf800000, v4
	v_cvt_u32_f32_e32 v5, v5
	s_delay_alu instid0(VALU_DEP_2) | instskip(NEXT) | instid1(VALU_DEP_2)
	v_cvt_u32_f32_e32 v4, v4
	v_mul_lo_u32 v14, s2, v5
	s_delay_alu instid0(VALU_DEP_2) | instskip(SKIP_1) | instid1(VALU_DEP_2)
	v_mul_hi_u32 v15, s2, v4
	v_mul_lo_u32 v16, s5, v4
	v_add_nc_u32_e32 v14, v15, v14
	v_mul_lo_u32 v15, s2, v4
	s_delay_alu instid0(VALU_DEP_2) | instskip(NEXT) | instid1(VALU_DEP_2)
	v_add_nc_u32_e32 v14, v14, v16
	v_mul_hi_u32 v16, v4, v15
	s_delay_alu instid0(VALU_DEP_2)
	v_mul_lo_u32 v17, v4, v14
	v_mul_hi_u32 v18, v4, v14
	v_mul_hi_u32 v19, v5, v15
	v_mul_lo_u32 v15, v5, v15
	v_mul_hi_u32 v20, v5, v14
	v_mul_lo_u32 v14, v5, v14
	v_add_co_u32 v16, vcc_lo, v16, v17
	v_add_co_ci_u32_e32 v17, vcc_lo, 0, v18, vcc_lo
	s_delay_alu instid0(VALU_DEP_2) | instskip(NEXT) | instid1(VALU_DEP_2)
	v_add_co_u32 v15, vcc_lo, v16, v15
	v_add_co_ci_u32_e32 v15, vcc_lo, v17, v19, vcc_lo
	v_add_co_ci_u32_e32 v16, vcc_lo, 0, v20, vcc_lo
	v_ashrrev_i32_e32 v19, 31, v11
	s_delay_alu instid0(VALU_DEP_3) | instskip(NEXT) | instid1(VALU_DEP_3)
	v_add_co_u32 v14, vcc_lo, v15, v14
	v_add_co_ci_u32_e32 v15, vcc_lo, 0, v16, vcc_lo
	s_delay_alu instid0(VALU_DEP_2) | instskip(NEXT) | instid1(VALU_DEP_2)
	v_add_co_u32 v4, vcc_lo, v4, v14
	v_add_co_ci_u32_e32 v5, vcc_lo, v5, v15, vcc_lo
	s_delay_alu instid0(VALU_DEP_2) | instskip(SKIP_1) | instid1(VALU_DEP_3)
	v_mul_hi_u32 v14, s2, v4
	v_mul_lo_u32 v16, s5, v4
	v_mul_lo_u32 v15, s2, v5
	s_delay_alu instid0(VALU_DEP_1) | instskip(SKIP_1) | instid1(VALU_DEP_2)
	v_add_nc_u32_e32 v14, v14, v15
	v_mul_lo_u32 v15, s2, v4
	v_add_nc_u32_e32 v14, v14, v16
	s_delay_alu instid0(VALU_DEP_2) | instskip(NEXT) | instid1(VALU_DEP_2)
	v_mul_hi_u32 v16, v4, v15
	v_mul_lo_u32 v17, v4, v14
	v_mul_hi_u32 v18, v4, v14
	v_mul_hi_u32 v20, v5, v15
	v_mul_lo_u32 v15, v5, v15
	v_mul_hi_u32 v21, v5, v14
	v_mul_lo_u32 v14, v5, v14
	v_add_co_u32 v16, vcc_lo, v16, v17
	v_add_co_ci_u32_e32 v17, vcc_lo, 0, v18, vcc_lo
	s_delay_alu instid0(VALU_DEP_2) | instskip(NEXT) | instid1(VALU_DEP_2)
	v_add_co_u32 v15, vcc_lo, v16, v15
	v_add_co_ci_u32_e32 v15, vcc_lo, v17, v20, vcc_lo
	v_add_co_ci_u32_e32 v16, vcc_lo, 0, v21, vcc_lo
	v_add_co_u32 v17, vcc_lo, v10, v19
	v_add_co_ci_u32_e32 v18, vcc_lo, v11, v19, vcc_lo
	s_delay_alu instid0(VALU_DEP_4) | instskip(NEXT) | instid1(VALU_DEP_4)
	v_add_co_u32 v14, vcc_lo, v15, v14
	v_add_co_ci_u32_e32 v15, vcc_lo, 0, v16, vcc_lo
	s_delay_alu instid0(VALU_DEP_4) | instskip(NEXT) | instid1(VALU_DEP_3)
	v_xor_b32_e32 v20, v17, v19
	v_add_co_u32 v16, vcc_lo, v4, v14
	s_delay_alu instid0(VALU_DEP_3) | instskip(SKIP_1) | instid1(VALU_DEP_3)
	v_add_co_ci_u32_e32 v21, vcc_lo, v5, v15, vcc_lo
	v_xor_b32_e32 v18, v18, v19
	v_mul_hi_u32 v22, v20, v16
	s_delay_alu instid0(VALU_DEP_3) | instskip(NEXT) | instid1(VALU_DEP_3)
	v_mad_u64_u32 v[4:5], null, v20, v21, 0
	v_mad_u64_u32 v[14:15], null, v18, v16, 0
	;; [unrolled: 1-line block ×3, first 2 shown]
	s_delay_alu instid0(VALU_DEP_3) | instskip(NEXT) | instid1(VALU_DEP_4)
	v_add_co_u32 v4, vcc_lo, v22, v4
	v_add_co_ci_u32_e32 v5, vcc_lo, 0, v5, vcc_lo
	s_delay_alu instid0(VALU_DEP_2) | instskip(NEXT) | instid1(VALU_DEP_2)
	v_add_co_u32 v4, vcc_lo, v4, v14
	v_add_co_ci_u32_e32 v4, vcc_lo, v5, v15, vcc_lo
	v_add_co_ci_u32_e32 v5, vcc_lo, 0, v17, vcc_lo
	s_delay_alu instid0(VALU_DEP_2) | instskip(NEXT) | instid1(VALU_DEP_2)
	v_add_co_u32 v14, vcc_lo, v4, v16
	v_add_co_ci_u32_e32 v15, vcc_lo, 0, v5, vcc_lo
	s_delay_alu instid0(VALU_DEP_2) | instskip(SKIP_1) | instid1(VALU_DEP_3)
	v_mul_lo_u32 v16, s7, v14
	v_mad_u64_u32 v[4:5], null, s6, v14, 0
	v_mul_lo_u32 v17, s6, v15
	s_delay_alu instid0(VALU_DEP_2) | instskip(NEXT) | instid1(VALU_DEP_2)
	v_sub_co_u32 v4, vcc_lo, v20, v4
	v_add3_u32 v5, v5, v17, v16
	s_delay_alu instid0(VALU_DEP_1) | instskip(NEXT) | instid1(VALU_DEP_1)
	v_sub_nc_u32_e32 v16, v18, v5
	v_subrev_co_ci_u32_e64 v16, s2, s7, v16, vcc_lo
	v_add_co_u32 v17, s2, v14, 2
	s_delay_alu instid0(VALU_DEP_1) | instskip(SKIP_3) | instid1(VALU_DEP_3)
	v_add_co_ci_u32_e64 v20, s2, 0, v15, s2
	v_sub_co_u32 v21, s2, v4, s6
	v_sub_co_ci_u32_e32 v5, vcc_lo, v18, v5, vcc_lo
	v_subrev_co_ci_u32_e64 v16, s2, 0, v16, s2
	v_cmp_le_u32_e32 vcc_lo, s6, v21
	s_delay_alu instid0(VALU_DEP_3) | instskip(SKIP_1) | instid1(VALU_DEP_4)
	v_cmp_eq_u32_e64 s2, s7, v5
	v_cndmask_b32_e64 v18, 0, -1, vcc_lo
	v_cmp_le_u32_e32 vcc_lo, s7, v16
	v_cndmask_b32_e64 v21, 0, -1, vcc_lo
	v_cmp_le_u32_e32 vcc_lo, s6, v4
	v_cndmask_b32_e64 v4, 0, -1, vcc_lo
	v_cmp_le_u32_e32 vcc_lo, s7, v5
	v_cndmask_b32_e64 v22, 0, -1, vcc_lo
	v_cmp_eq_u32_e32 vcc_lo, s7, v16
	s_delay_alu instid0(VALU_DEP_2) | instskip(SKIP_3) | instid1(VALU_DEP_3)
	v_cndmask_b32_e64 v4, v22, v4, s2
	v_cndmask_b32_e32 v16, v21, v18, vcc_lo
	v_add_co_u32 v18, vcc_lo, v14, 1
	v_add_co_ci_u32_e32 v21, vcc_lo, 0, v15, vcc_lo
	v_cmp_ne_u32_e32 vcc_lo, 0, v16
	s_delay_alu instid0(VALU_DEP_2) | instskip(SKIP_2) | instid1(VALU_DEP_3)
	v_dual_cndmask_b32 v5, v21, v20 :: v_dual_cndmask_b32 v16, v18, v17
	v_cmp_ne_u32_e32 vcc_lo, 0, v4
	v_xor_b32_e32 v17, s4, v19
	v_dual_cndmask_b32 v4, v15, v5 :: v_dual_cndmask_b32 v5, v14, v16
	s_delay_alu instid0(VALU_DEP_1) | instskip(NEXT) | instid1(VALU_DEP_2)
	v_xor_b32_e32 v14, v4, v17
	v_xor_b32_e32 v5, v5, v17
	s_delay_alu instid0(VALU_DEP_1) | instskip(NEXT) | instid1(VALU_DEP_3)
	v_sub_co_u32 v4, vcc_lo, v5, v17
	v_sub_co_ci_u32_e32 v5, vcc_lo, v14, v17, vcc_lo
.LBB32_19:
	s_and_not1_saveexec_b32 s2, s9
	s_cbranch_execz .LBB32_21
; %bb.20:
	v_cvt_f32_u32_e32 v4, s3
	s_sub_i32 s4, 0, s3
	s_delay_alu instid0(VALU_DEP_1) | instskip(SKIP_2) | instid1(VALU_DEP_1)
	v_rcp_iflag_f32_e32 v4, v4
	s_waitcnt_depctr 0xfff
	v_mul_f32_e32 v4, 0x4f7ffffe, v4
	v_cvt_u32_f32_e32 v4, v4
	s_delay_alu instid0(VALU_DEP_1) | instskip(NEXT) | instid1(VALU_DEP_1)
	v_mul_lo_u32 v5, s4, v4
	v_mul_hi_u32 v5, v4, v5
	s_delay_alu instid0(VALU_DEP_1) | instskip(NEXT) | instid1(VALU_DEP_1)
	v_add_nc_u32_e32 v4, v4, v5
	v_mul_hi_u32 v4, v10, v4
	s_delay_alu instid0(VALU_DEP_1) | instskip(SKIP_1) | instid1(VALU_DEP_2)
	v_mul_lo_u32 v5, v4, s3
	v_add_nc_u32_e32 v14, 1, v4
	v_sub_nc_u32_e32 v5, v10, v5
	s_delay_alu instid0(VALU_DEP_1) | instskip(SKIP_1) | instid1(VALU_DEP_2)
	v_subrev_nc_u32_e32 v15, s3, v5
	v_cmp_le_u32_e32 vcc_lo, s3, v5
	v_dual_cndmask_b32 v5, v5, v15 :: v_dual_cndmask_b32 v4, v4, v14
	s_delay_alu instid0(VALU_DEP_1) | instskip(NEXT) | instid1(VALU_DEP_2)
	v_cmp_le_u32_e32 vcc_lo, s3, v5
	v_dual_mov_b32 v5, 0 :: v_dual_add_nc_u32 v14, 1, v4
	s_delay_alu instid0(VALU_DEP_1)
	v_cndmask_b32_e32 v4, v4, v14, vcc_lo
.LBB32_21:
	s_or_b32 exec_lo, exec_lo, s2
	s_delay_alu instid0(VALU_DEP_1) | instskip(NEXT) | instid1(VALU_DEP_2)
	v_mul_lo_u32 v16, s8, v4
	v_mul_lo_u32 v17, s3, v5
	v_mad_u64_u32 v[14:15], null, s3, v4, 0
	s_delay_alu instid0(VALU_DEP_1) | instskip(NEXT) | instid1(VALU_DEP_2)
	v_add3_u32 v15, v15, v17, v16
	v_sub_co_u32 v14, vcc_lo, v10, v14
	v_mov_b32_e32 v10, 0
	s_delay_alu instid0(VALU_DEP_3) | instskip(NEXT) | instid1(VALU_DEP_1)
	v_sub_co_ci_u32_e32 v15, vcc_lo, v11, v15, vcc_lo
	v_or_b32_e32 v11, s41, v15
	s_delay_alu instid0(VALU_DEP_1) | instskip(SKIP_1) | instid1(SALU_CYCLE_1)
	v_cmp_ne_u64_e32 vcc_lo, 0, v[10:11]
                                        ; implicit-def: $vgpr10_vgpr11
	s_and_saveexec_b32 s2, vcc_lo
	s_xor_b32 s3, exec_lo, s2
	s_cbranch_execz .LBB32_23
; %bb.22:
	s_ashr_i32 s4, s41, 31
	s_delay_alu instid0(SALU_CYCLE_1) | instskip(SKIP_2) | instid1(SALU_CYCLE_1)
	s_add_u32 s6, s40, s4
	s_mov_b32 s5, s4
	s_addc_u32 s7, s41, s4
	s_xor_b64 s[6:7], s[6:7], s[4:5]
	s_delay_alu instid0(SALU_CYCLE_1) | instskip(SKIP_3) | instid1(VALU_DEP_1)
	v_cvt_f32_u32_e32 v10, s6
	v_cvt_f32_u32_e32 v11, s7
	s_sub_u32 s2, 0, s6
	s_subb_u32 s5, 0, s7
	v_fmamk_f32 v10, v11, 0x4f800000, v10
	s_delay_alu instid0(VALU_DEP_1) | instskip(SKIP_2) | instid1(VALU_DEP_1)
	v_rcp_f32_e32 v10, v10
	s_waitcnt_depctr 0xfff
	v_mul_f32_e32 v10, 0x5f7ffffc, v10
	v_mul_f32_e32 v11, 0x2f800000, v10
	s_delay_alu instid0(VALU_DEP_1) | instskip(NEXT) | instid1(VALU_DEP_1)
	v_trunc_f32_e32 v11, v11
	v_fmamk_f32 v10, v11, 0xcf800000, v10
	v_cvt_u32_f32_e32 v11, v11
	s_delay_alu instid0(VALU_DEP_2) | instskip(NEXT) | instid1(VALU_DEP_2)
	v_cvt_u32_f32_e32 v10, v10
	v_mul_lo_u32 v16, s2, v11
	s_delay_alu instid0(VALU_DEP_2) | instskip(SKIP_1) | instid1(VALU_DEP_2)
	v_mul_hi_u32 v17, s2, v10
	v_mul_lo_u32 v18, s5, v10
	v_add_nc_u32_e32 v16, v17, v16
	v_mul_lo_u32 v17, s2, v10
	s_delay_alu instid0(VALU_DEP_2) | instskip(NEXT) | instid1(VALU_DEP_2)
	v_add_nc_u32_e32 v16, v16, v18
	v_mul_hi_u32 v18, v10, v17
	s_delay_alu instid0(VALU_DEP_2)
	v_mul_lo_u32 v19, v10, v16
	v_mul_hi_u32 v20, v10, v16
	v_mul_hi_u32 v21, v11, v17
	v_mul_lo_u32 v17, v11, v17
	v_mul_hi_u32 v22, v11, v16
	v_mul_lo_u32 v16, v11, v16
	v_add_co_u32 v18, vcc_lo, v18, v19
	v_add_co_ci_u32_e32 v19, vcc_lo, 0, v20, vcc_lo
	s_delay_alu instid0(VALU_DEP_2) | instskip(NEXT) | instid1(VALU_DEP_2)
	v_add_co_u32 v17, vcc_lo, v18, v17
	v_add_co_ci_u32_e32 v17, vcc_lo, v19, v21, vcc_lo
	v_add_co_ci_u32_e32 v18, vcc_lo, 0, v22, vcc_lo
	v_ashrrev_i32_e32 v21, 31, v15
	s_delay_alu instid0(VALU_DEP_3) | instskip(NEXT) | instid1(VALU_DEP_3)
	v_add_co_u32 v16, vcc_lo, v17, v16
	v_add_co_ci_u32_e32 v17, vcc_lo, 0, v18, vcc_lo
	s_delay_alu instid0(VALU_DEP_2) | instskip(NEXT) | instid1(VALU_DEP_2)
	v_add_co_u32 v10, vcc_lo, v10, v16
	v_add_co_ci_u32_e32 v11, vcc_lo, v11, v17, vcc_lo
	s_delay_alu instid0(VALU_DEP_2) | instskip(SKIP_1) | instid1(VALU_DEP_3)
	v_mul_hi_u32 v16, s2, v10
	v_mul_lo_u32 v18, s5, v10
	v_mul_lo_u32 v17, s2, v11
	s_delay_alu instid0(VALU_DEP_1) | instskip(SKIP_1) | instid1(VALU_DEP_2)
	v_add_nc_u32_e32 v16, v16, v17
	v_mul_lo_u32 v17, s2, v10
	v_add_nc_u32_e32 v16, v16, v18
	s_delay_alu instid0(VALU_DEP_2) | instskip(NEXT) | instid1(VALU_DEP_2)
	v_mul_hi_u32 v18, v10, v17
	v_mul_lo_u32 v19, v10, v16
	v_mul_hi_u32 v20, v10, v16
	v_mul_hi_u32 v22, v11, v17
	v_mul_lo_u32 v17, v11, v17
	v_mul_hi_u32 v23, v11, v16
	v_mul_lo_u32 v16, v11, v16
	v_add_co_u32 v18, vcc_lo, v18, v19
	v_add_co_ci_u32_e32 v19, vcc_lo, 0, v20, vcc_lo
	s_delay_alu instid0(VALU_DEP_2) | instskip(NEXT) | instid1(VALU_DEP_2)
	v_add_co_u32 v17, vcc_lo, v18, v17
	v_add_co_ci_u32_e32 v17, vcc_lo, v19, v22, vcc_lo
	v_add_co_ci_u32_e32 v18, vcc_lo, 0, v23, vcc_lo
	v_add_co_u32 v19, vcc_lo, v14, v21
	v_add_co_ci_u32_e32 v20, vcc_lo, v15, v21, vcc_lo
	s_delay_alu instid0(VALU_DEP_4) | instskip(NEXT) | instid1(VALU_DEP_4)
	v_add_co_u32 v16, vcc_lo, v17, v16
	v_add_co_ci_u32_e32 v17, vcc_lo, 0, v18, vcc_lo
	s_delay_alu instid0(VALU_DEP_4) | instskip(NEXT) | instid1(VALU_DEP_3)
	v_xor_b32_e32 v22, v19, v21
	v_add_co_u32 v18, vcc_lo, v10, v16
	s_delay_alu instid0(VALU_DEP_3) | instskip(SKIP_1) | instid1(VALU_DEP_3)
	v_add_co_ci_u32_e32 v23, vcc_lo, v11, v17, vcc_lo
	v_xor_b32_e32 v20, v20, v21
	v_mul_hi_u32 v24, v22, v18
	s_delay_alu instid0(VALU_DEP_3) | instskip(NEXT) | instid1(VALU_DEP_3)
	v_mad_u64_u32 v[10:11], null, v22, v23, 0
	v_mad_u64_u32 v[16:17], null, v20, v18, 0
	;; [unrolled: 1-line block ×3, first 2 shown]
	s_delay_alu instid0(VALU_DEP_3) | instskip(NEXT) | instid1(VALU_DEP_4)
	v_add_co_u32 v10, vcc_lo, v24, v10
	v_add_co_ci_u32_e32 v11, vcc_lo, 0, v11, vcc_lo
	s_delay_alu instid0(VALU_DEP_2) | instskip(NEXT) | instid1(VALU_DEP_2)
	v_add_co_u32 v10, vcc_lo, v10, v16
	v_add_co_ci_u32_e32 v10, vcc_lo, v11, v17, vcc_lo
	v_add_co_ci_u32_e32 v11, vcc_lo, 0, v19, vcc_lo
	s_delay_alu instid0(VALU_DEP_2) | instskip(NEXT) | instid1(VALU_DEP_2)
	v_add_co_u32 v16, vcc_lo, v10, v18
	v_add_co_ci_u32_e32 v17, vcc_lo, 0, v11, vcc_lo
	s_delay_alu instid0(VALU_DEP_2) | instskip(SKIP_1) | instid1(VALU_DEP_3)
	v_mul_lo_u32 v18, s7, v16
	v_mad_u64_u32 v[10:11], null, s6, v16, 0
	v_mul_lo_u32 v19, s6, v17
	s_delay_alu instid0(VALU_DEP_2) | instskip(NEXT) | instid1(VALU_DEP_2)
	v_sub_co_u32 v10, vcc_lo, v22, v10
	v_add3_u32 v11, v11, v19, v18
	s_delay_alu instid0(VALU_DEP_1) | instskip(NEXT) | instid1(VALU_DEP_1)
	v_sub_nc_u32_e32 v18, v20, v11
	v_subrev_co_ci_u32_e64 v18, s2, s7, v18, vcc_lo
	v_add_co_u32 v19, s2, v16, 2
	s_delay_alu instid0(VALU_DEP_1) | instskip(SKIP_3) | instid1(VALU_DEP_3)
	v_add_co_ci_u32_e64 v22, s2, 0, v17, s2
	v_sub_co_u32 v23, s2, v10, s6
	v_sub_co_ci_u32_e32 v11, vcc_lo, v20, v11, vcc_lo
	v_subrev_co_ci_u32_e64 v18, s2, 0, v18, s2
	v_cmp_le_u32_e32 vcc_lo, s6, v23
	s_delay_alu instid0(VALU_DEP_3) | instskip(SKIP_1) | instid1(VALU_DEP_4)
	v_cmp_eq_u32_e64 s2, s7, v11
	v_cndmask_b32_e64 v20, 0, -1, vcc_lo
	v_cmp_le_u32_e32 vcc_lo, s7, v18
	v_cndmask_b32_e64 v23, 0, -1, vcc_lo
	v_cmp_le_u32_e32 vcc_lo, s6, v10
	;; [unrolled: 2-line block ×3, first 2 shown]
	v_cndmask_b32_e64 v24, 0, -1, vcc_lo
	v_cmp_eq_u32_e32 vcc_lo, s7, v18
	s_delay_alu instid0(VALU_DEP_2) | instskip(SKIP_3) | instid1(VALU_DEP_3)
	v_cndmask_b32_e64 v10, v24, v10, s2
	v_cndmask_b32_e32 v18, v23, v20, vcc_lo
	v_add_co_u32 v20, vcc_lo, v16, 1
	v_add_co_ci_u32_e32 v23, vcc_lo, 0, v17, vcc_lo
	v_cmp_ne_u32_e32 vcc_lo, 0, v18
	s_delay_alu instid0(VALU_DEP_2) | instskip(SKIP_2) | instid1(VALU_DEP_3)
	v_dual_cndmask_b32 v11, v23, v22 :: v_dual_cndmask_b32 v18, v20, v19
	v_cmp_ne_u32_e32 vcc_lo, 0, v10
	v_xor_b32_e32 v19, s4, v21
	v_dual_cndmask_b32 v10, v17, v11 :: v_dual_cndmask_b32 v11, v16, v18
	s_delay_alu instid0(VALU_DEP_1) | instskip(NEXT) | instid1(VALU_DEP_2)
	v_xor_b32_e32 v16, v10, v19
	v_xor_b32_e32 v11, v11, v19
	s_delay_alu instid0(VALU_DEP_1) | instskip(NEXT) | instid1(VALU_DEP_3)
	v_sub_co_u32 v10, vcc_lo, v11, v19
	v_sub_co_ci_u32_e32 v11, vcc_lo, v16, v19, vcc_lo
.LBB32_23:
	s_and_not1_saveexec_b32 s2, s3
	s_cbranch_execz .LBB32_25
; %bb.24:
	v_cvt_f32_u32_e32 v10, s40
	s_sub_i32 s3, 0, s40
	s_delay_alu instid0(VALU_DEP_1) | instskip(SKIP_2) | instid1(VALU_DEP_1)
	v_rcp_iflag_f32_e32 v10, v10
	s_waitcnt_depctr 0xfff
	v_mul_f32_e32 v10, 0x4f7ffffe, v10
	v_cvt_u32_f32_e32 v10, v10
	s_delay_alu instid0(VALU_DEP_1) | instskip(NEXT) | instid1(VALU_DEP_1)
	v_mul_lo_u32 v11, s3, v10
	v_mul_hi_u32 v11, v10, v11
	s_delay_alu instid0(VALU_DEP_1) | instskip(NEXT) | instid1(VALU_DEP_1)
	v_add_nc_u32_e32 v10, v10, v11
	v_mul_hi_u32 v10, v14, v10
	s_delay_alu instid0(VALU_DEP_1) | instskip(SKIP_1) | instid1(VALU_DEP_2)
	v_mul_lo_u32 v11, v10, s40
	v_add_nc_u32_e32 v16, 1, v10
	v_sub_nc_u32_e32 v11, v14, v11
	s_delay_alu instid0(VALU_DEP_1) | instskip(SKIP_1) | instid1(VALU_DEP_2)
	v_subrev_nc_u32_e32 v17, s40, v11
	v_cmp_le_u32_e32 vcc_lo, s40, v11
	v_dual_cndmask_b32 v11, v11, v17 :: v_dual_cndmask_b32 v10, v10, v16
	s_delay_alu instid0(VALU_DEP_1) | instskip(NEXT) | instid1(VALU_DEP_2)
	v_cmp_le_u32_e32 vcc_lo, s40, v11
	v_dual_mov_b32 v11, 0 :: v_dual_add_nc_u32 v16, 1, v10
	s_delay_alu instid0(VALU_DEP_1)
	v_cndmask_b32_e32 v10, v10, v16, vcc_lo
.LBB32_25:
	s_or_b32 exec_lo, exec_lo, s2
	v_mul_lo_u32 v18, v7, s22
	v_mul_lo_u32 v19, v6, s23
	v_mad_u64_u32 v[16:17], null, v6, s22, 0
	v_mul_lo_u32 v7, v7, s30
	v_mul_lo_u32 v3, v3, s36
	s_load_b64 s[0:1], s[0:1], 0x80
	s_delay_alu instid0(VALU_DEP_3) | instskip(NEXT) | instid1(VALU_DEP_4)
	v_add3_u32 v17, v17, v19, v18
	v_sub_co_u32 v16, vcc_lo, v12, v16
	s_delay_alu instid0(VALU_DEP_2) | instskip(NEXT) | instid1(VALU_DEP_2)
	v_sub_co_ci_u32_e32 v17, vcc_lo, v13, v17, vcc_lo
	v_mul_lo_u32 v18, v16, s29
	v_mad_u64_u32 v[12:13], null, v16, s28, s[16:17]
	s_delay_alu instid0(VALU_DEP_3) | instskip(NEXT) | instid1(VALU_DEP_1)
	v_mul_lo_u32 v16, v17, s28
	v_add3_u32 v13, v16, v13, v18
	v_mul_lo_u32 v18, v6, s31
	s_delay_alu instid0(VALU_DEP_2) | instskip(SKIP_1) | instid1(VALU_DEP_2)
	v_mad_u64_u32 v[16:17], null, v6, s30, v[12:13]
	v_mul_lo_u32 v12, v2, s37
	v_add3_u32 v17, v7, v17, v18
	s_delay_alu instid0(VALU_DEP_1) | instskip(NEXT) | instid1(VALU_DEP_1)
	v_mad_u64_u32 v[6:7], null, v2, s36, v[16:17]
	v_add3_u32 v7, v3, v7, v12
	v_mul_lo_u32 v12, v0, s39
	s_delay_alu instid0(VALU_DEP_2) | instskip(SKIP_1) | instid1(VALU_DEP_1)
	v_mad_u64_u32 v[2:3], null, v0, s38, v[6:7]
	v_mul_lo_u32 v0, v1, s38
	v_add3_u32 v3, v0, v3, v12
	v_mad_u64_u32 v[0:1], null, v10, s40, 0
	global_load_b32 v6, v[2:3], off
	v_mul_lo_u32 v2, v11, s40
	v_mul_lo_u32 v3, v10, s41
	s_delay_alu instid0(VALU_DEP_1) | instskip(SKIP_1) | instid1(VALU_DEP_2)
	v_add3_u32 v1, v1, v3, v2
	v_sub_co_u32 v2, vcc_lo, v14, v0
	v_sub_co_ci_u32_e32 v0, vcc_lo, v15, v1, vcc_lo
	s_delay_alu instid0(VALU_DEP_2) | instskip(NEXT) | instid1(VALU_DEP_2)
	v_mul_lo_u32 v3, v2, s47
	v_mul_lo_u32 v7, v0, s46
	v_mad_u64_u32 v[0:1], null, v2, s46, s[18:19]
	s_delay_alu instid0(VALU_DEP_1) | instskip(NEXT) | instid1(VALU_DEP_1)
	v_add3_u32 v1, v7, v1, v3
	v_mad_u64_u32 v[2:3], null, v10, s48, v[0:1]
	v_mul_lo_u32 v0, v10, s49
	v_mul_lo_u32 v1, v11, s48
	s_delay_alu instid0(VALU_DEP_1) | instskip(NEXT) | instid1(VALU_DEP_1)
	v_add3_u32 v3, v1, v3, v0
	v_mad_u64_u32 v[0:1], null, v4, s50, v[2:3]
	v_mul_lo_u32 v2, v4, s51
	v_mul_lo_u32 v3, v5, s50
	s_delay_alu instid0(VALU_DEP_1) | instskip(SKIP_1) | instid1(VALU_DEP_1)
	v_add3_u32 v1, v3, v1, v2
	s_waitcnt lgkmcnt(0)
	v_mad_u64_u32 v[2:3], null, v8, s0, v[0:1]
	v_mul_lo_u32 v0, v8, s1
	v_mul_lo_u32 v1, v9, s0
	s_delay_alu instid0(VALU_DEP_1)
	v_add3_u32 v3, v1, v3, v0
	s_waitcnt vmcnt(0)
	v_cvt_i32_f32_e32 v0, v6
	global_store_b32 v[2:3], v0, off
.LBB32_26:
	s_nop 0
	s_sendmsg sendmsg(MSG_DEALLOC_VGPRS)
	s_endpgm
	.section	.rodata,"a",@progbits
	.p2align	6, 0x0
	.amdhsa_kernel _ZL10cpy_scalarIXadL_ZL12cpy_1_scalarIfiEvPKcPcEEEvS2_S3_lllllllllllllll
		.amdhsa_group_segment_fixed_size 0
		.amdhsa_private_segment_fixed_size 0
		.amdhsa_kernarg_size 392
		.amdhsa_user_sgpr_count 15
		.amdhsa_user_sgpr_dispatch_ptr 0
		.amdhsa_user_sgpr_queue_ptr 0
		.amdhsa_user_sgpr_kernarg_segment_ptr 1
		.amdhsa_user_sgpr_dispatch_id 0
		.amdhsa_user_sgpr_private_segment_size 0
		.amdhsa_wavefront_size32 1
		.amdhsa_uses_dynamic_stack 0
		.amdhsa_enable_private_segment 0
		.amdhsa_system_sgpr_workgroup_id_x 1
		.amdhsa_system_sgpr_workgroup_id_y 0
		.amdhsa_system_sgpr_workgroup_id_z 0
		.amdhsa_system_sgpr_workgroup_info 0
		.amdhsa_system_vgpr_workitem_id 0
		.amdhsa_next_free_vgpr 25
		.amdhsa_next_free_sgpr 52
		.amdhsa_reserve_vcc 1
		.amdhsa_float_round_mode_32 0
		.amdhsa_float_round_mode_16_64 0
		.amdhsa_float_denorm_mode_32 3
		.amdhsa_float_denorm_mode_16_64 3
		.amdhsa_dx10_clamp 1
		.amdhsa_ieee_mode 1
		.amdhsa_fp16_overflow 0
		.amdhsa_workgroup_processor_mode 1
		.amdhsa_memory_ordered 1
		.amdhsa_forward_progress 0
		.amdhsa_shared_vgpr_count 0
		.amdhsa_exception_fp_ieee_invalid_op 0
		.amdhsa_exception_fp_denorm_src 0
		.amdhsa_exception_fp_ieee_div_zero 0
		.amdhsa_exception_fp_ieee_overflow 0
		.amdhsa_exception_fp_ieee_underflow 0
		.amdhsa_exception_fp_ieee_inexact 0
		.amdhsa_exception_int_div_zero 0
	.end_amdhsa_kernel
	.section	.text._ZL10cpy_scalarIXadL_ZL12cpy_1_scalarIfiEvPKcPcEEEvS2_S3_lllllllllllllll,"axG",@progbits,_ZL10cpy_scalarIXadL_ZL12cpy_1_scalarIfiEvPKcPcEEEvS2_S3_lllllllllllllll,comdat
.Lfunc_end32:
	.size	_ZL10cpy_scalarIXadL_ZL12cpy_1_scalarIfiEvPKcPcEEEvS2_S3_lllllllllllllll, .Lfunc_end32-_ZL10cpy_scalarIXadL_ZL12cpy_1_scalarIfiEvPKcPcEEEvS2_S3_lllllllllllllll
                                        ; -- End function
	.section	.AMDGPU.csdata,"",@progbits
; Kernel info:
; codeLenInByte = 6832
; NumSgprs: 54
; NumVgprs: 25
; ScratchSize: 0
; MemoryBound: 0
; FloatMode: 240
; IeeeMode: 1
; LDSByteSize: 0 bytes/workgroup (compile time only)
; SGPRBlocks: 6
; VGPRBlocks: 3
; NumSGPRsForWavesPerEU: 54
; NumVGPRsForWavesPerEU: 25
; Occupancy: 16
; WaveLimiterHint : 0
; COMPUTE_PGM_RSRC2:SCRATCH_EN: 0
; COMPUTE_PGM_RSRC2:USER_SGPR: 15
; COMPUTE_PGM_RSRC2:TRAP_HANDLER: 0
; COMPUTE_PGM_RSRC2:TGID_X_EN: 1
; COMPUTE_PGM_RSRC2:TGID_Y_EN: 0
; COMPUTE_PGM_RSRC2:TGID_Z_EN: 0
; COMPUTE_PGM_RSRC2:TIDIG_COMP_CNT: 0
	.section	.text._ZL21cpy_scalar_contiguousIifEvPKcPcl,"axG",@progbits,_ZL21cpy_scalar_contiguousIifEvPKcPcl,comdat
	.globl	_ZL21cpy_scalar_contiguousIifEvPKcPcl ; -- Begin function _ZL21cpy_scalar_contiguousIifEvPKcPcl
	.p2align	8
	.type	_ZL21cpy_scalar_contiguousIifEvPKcPcl,@function
_ZL21cpy_scalar_contiguousIifEvPKcPcl:  ; @_ZL21cpy_scalar_contiguousIifEvPKcPcl
; %bb.0:
	s_clause 0x1
	s_load_b32 s4, s[0:1], 0x24
	s_load_b64 s[2:3], s[0:1], 0x10
	v_mov_b32_e32 v1, 0
	s_waitcnt lgkmcnt(0)
	s_and_b32 s4, s4, 0xffff
	s_delay_alu instid0(VALU_DEP_1) | instid1(SALU_CYCLE_1)
	v_mad_u64_u32 v[2:3], null, s4, s15, v[0:1]
	s_delay_alu instid0(VALU_DEP_1)
	v_cmp_gt_i64_e32 vcc_lo, s[2:3], v[2:3]
	s_and_saveexec_b32 s2, vcc_lo
	s_cbranch_execz .LBB33_2
; %bb.1:
	s_load_b128 s[0:3], s[0:1], 0x0
	v_lshlrev_b64 v[0:1], 2, v[2:3]
	s_waitcnt lgkmcnt(0)
	s_delay_alu instid0(VALU_DEP_1) | instskip(NEXT) | instid1(VALU_DEP_2)
	v_add_co_u32 v2, vcc_lo, s0, v0
	v_add_co_ci_u32_e32 v3, vcc_lo, s1, v1, vcc_lo
	v_add_co_u32 v0, vcc_lo, s2, v0
	v_add_co_ci_u32_e32 v1, vcc_lo, s3, v1, vcc_lo
	global_load_b32 v2, v[2:3], off
	s_waitcnt vmcnt(0)
	v_cvt_f32_i32_e32 v2, v2
	global_store_b32 v[0:1], v2, off
.LBB33_2:
	s_nop 0
	s_sendmsg sendmsg(MSG_DEALLOC_VGPRS)
	s_endpgm
	.section	.rodata,"a",@progbits
	.p2align	6, 0x0
	.amdhsa_kernel _ZL21cpy_scalar_contiguousIifEvPKcPcl
		.amdhsa_group_segment_fixed_size 0
		.amdhsa_private_segment_fixed_size 0
		.amdhsa_kernarg_size 280
		.amdhsa_user_sgpr_count 15
		.amdhsa_user_sgpr_dispatch_ptr 0
		.amdhsa_user_sgpr_queue_ptr 0
		.amdhsa_user_sgpr_kernarg_segment_ptr 1
		.amdhsa_user_sgpr_dispatch_id 0
		.amdhsa_user_sgpr_private_segment_size 0
		.amdhsa_wavefront_size32 1
		.amdhsa_uses_dynamic_stack 0
		.amdhsa_enable_private_segment 0
		.amdhsa_system_sgpr_workgroup_id_x 1
		.amdhsa_system_sgpr_workgroup_id_y 0
		.amdhsa_system_sgpr_workgroup_id_z 0
		.amdhsa_system_sgpr_workgroup_info 0
		.amdhsa_system_vgpr_workitem_id 0
		.amdhsa_next_free_vgpr 4
		.amdhsa_next_free_sgpr 16
		.amdhsa_reserve_vcc 1
		.amdhsa_float_round_mode_32 0
		.amdhsa_float_round_mode_16_64 0
		.amdhsa_float_denorm_mode_32 3
		.amdhsa_float_denorm_mode_16_64 3
		.amdhsa_dx10_clamp 1
		.amdhsa_ieee_mode 1
		.amdhsa_fp16_overflow 0
		.amdhsa_workgroup_processor_mode 1
		.amdhsa_memory_ordered 1
		.amdhsa_forward_progress 0
		.amdhsa_shared_vgpr_count 0
		.amdhsa_exception_fp_ieee_invalid_op 0
		.amdhsa_exception_fp_denorm_src 0
		.amdhsa_exception_fp_ieee_div_zero 0
		.amdhsa_exception_fp_ieee_overflow 0
		.amdhsa_exception_fp_ieee_underflow 0
		.amdhsa_exception_fp_ieee_inexact 0
		.amdhsa_exception_int_div_zero 0
	.end_amdhsa_kernel
	.section	.text._ZL21cpy_scalar_contiguousIifEvPKcPcl,"axG",@progbits,_ZL21cpy_scalar_contiguousIifEvPKcPcl,comdat
.Lfunc_end33:
	.size	_ZL21cpy_scalar_contiguousIifEvPKcPcl, .Lfunc_end33-_ZL21cpy_scalar_contiguousIifEvPKcPcl
                                        ; -- End function
	.section	.AMDGPU.csdata,"",@progbits
; Kernel info:
; codeLenInByte = 148
; NumSgprs: 18
; NumVgprs: 4
; ScratchSize: 0
; MemoryBound: 0
; FloatMode: 240
; IeeeMode: 1
; LDSByteSize: 0 bytes/workgroup (compile time only)
; SGPRBlocks: 2
; VGPRBlocks: 0
; NumSGPRsForWavesPerEU: 18
; NumVGPRsForWavesPerEU: 4
; Occupancy: 16
; WaveLimiterHint : 0
; COMPUTE_PGM_RSRC2:SCRATCH_EN: 0
; COMPUTE_PGM_RSRC2:USER_SGPR: 15
; COMPUTE_PGM_RSRC2:TRAP_HANDLER: 0
; COMPUTE_PGM_RSRC2:TGID_X_EN: 1
; COMPUTE_PGM_RSRC2:TGID_Y_EN: 0
; COMPUTE_PGM_RSRC2:TGID_Z_EN: 0
; COMPUTE_PGM_RSRC2:TIDIG_COMP_CNT: 0
	.section	.text._ZL10cpy_scalarIXadL_ZL12cpy_1_scalarIifEvPKcPcEEEvS2_S3_lllllllllllllll,"axG",@progbits,_ZL10cpy_scalarIXadL_ZL12cpy_1_scalarIifEvPKcPcEEEvS2_S3_lllllllllllllll,comdat
	.globl	_ZL10cpy_scalarIXadL_ZL12cpy_1_scalarIifEvPKcPcEEEvS2_S3_lllllllllllllll ; -- Begin function _ZL10cpy_scalarIXadL_ZL12cpy_1_scalarIifEvPKcPcEEEvS2_S3_lllllllllllllll
	.p2align	8
	.type	_ZL10cpy_scalarIXadL_ZL12cpy_1_scalarIifEvPKcPcEEEvS2_S3_lllllllllllllll,@function
_ZL10cpy_scalarIXadL_ZL12cpy_1_scalarIifEvPKcPcEEEvS2_S3_lllllllllllllll: ; @_ZL10cpy_scalarIXadL_ZL12cpy_1_scalarIifEvPKcPcEEEvS2_S3_lllllllllllllll
; %bb.0:
	s_clause 0x1
	s_load_b32 s2, s[0:1], 0x94
	s_load_b512 s[16:31], s[0:1], 0x0
	v_mov_b32_e32 v2, 0
	s_delay_alu instid0(VALU_DEP_1)
	v_mov_b32_e32 v1, v2
	s_waitcnt lgkmcnt(0)
	s_and_b32 s2, s2, 0xffff
	s_delay_alu instid0(VALU_DEP_1) | instid1(SALU_CYCLE_1)
	v_mad_u64_u32 v[4:5], null, s2, s15, v[0:1]
	s_mov_b32 s2, exec_lo
	s_delay_alu instid0(VALU_DEP_1)
	v_cmpx_gt_i64_e64 s[20:21], v[4:5]
	s_cbranch_execz .LBB34_26
; %bb.1:
	s_mul_i32 s2, s24, s23
	s_mul_hi_u32 s3, s24, s22
	v_ashrrev_i32_e32 v10, 31, v5
	s_add_i32 s8, s3, s2
	s_mul_i32 s3, s24, s22
	s_mul_i32 s2, s25, s22
	;; [unrolled: 1-line block ×3, first 2 shown]
	s_mul_hi_u32 s5, s3, s26
	s_add_i32 s8, s8, s2
	s_add_i32 s2, s5, s4
	s_mul_i32 s4, s8, s26
	s_mul_i32 s10, s3, s26
	s_add_i32 s9, s2, s4
                                        ; implicit-def: $vgpr0_vgpr1
	s_mov_b32 s2, exec_lo
	v_or_b32_e32 v3, s9, v5
	s_delay_alu instid0(VALU_DEP_1)
	v_cmpx_ne_u64_e32 0, v[2:3]
	s_xor_b32 s11, exec_lo, s2
	s_cbranch_execz .LBB34_3
; %bb.2:
	s_ashr_i32 s4, s9, 31
	s_delay_alu instid0(SALU_CYCLE_1) | instskip(SKIP_2) | instid1(SALU_CYCLE_1)
	s_add_u32 s6, s10, s4
	s_mov_b32 s5, s4
	s_addc_u32 s7, s9, s4
	s_xor_b64 s[6:7], s[6:7], s[4:5]
	s_delay_alu instid0(SALU_CYCLE_1) | instskip(SKIP_3) | instid1(VALU_DEP_1)
	v_cvt_f32_u32_e32 v0, s6
	v_cvt_f32_u32_e32 v1, s7
	s_sub_u32 s2, 0, s6
	s_subb_u32 s5, 0, s7
	v_fmamk_f32 v0, v1, 0x4f800000, v0
	s_delay_alu instid0(VALU_DEP_1) | instskip(SKIP_2) | instid1(VALU_DEP_1)
	v_rcp_f32_e32 v0, v0
	s_waitcnt_depctr 0xfff
	v_mul_f32_e32 v0, 0x5f7ffffc, v0
	v_mul_f32_e32 v1, 0x2f800000, v0
	s_delay_alu instid0(VALU_DEP_1) | instskip(NEXT) | instid1(VALU_DEP_1)
	v_trunc_f32_e32 v1, v1
	v_fmamk_f32 v0, v1, 0xcf800000, v0
	v_cvt_u32_f32_e32 v1, v1
	s_delay_alu instid0(VALU_DEP_2) | instskip(NEXT) | instid1(VALU_DEP_2)
	v_cvt_u32_f32_e32 v0, v0
	v_mul_lo_u32 v2, s2, v1
	s_delay_alu instid0(VALU_DEP_2) | instskip(SKIP_1) | instid1(VALU_DEP_2)
	v_mul_hi_u32 v3, s2, v0
	v_mul_lo_u32 v6, s5, v0
	v_add_nc_u32_e32 v2, v3, v2
	v_mul_lo_u32 v3, s2, v0
	s_delay_alu instid0(VALU_DEP_2) | instskip(NEXT) | instid1(VALU_DEP_2)
	v_add_nc_u32_e32 v2, v2, v6
	v_mul_hi_u32 v6, v0, v3
	s_delay_alu instid0(VALU_DEP_2)
	v_mul_lo_u32 v7, v0, v2
	v_mul_hi_u32 v8, v0, v2
	v_mul_hi_u32 v9, v1, v3
	v_mul_lo_u32 v3, v1, v3
	v_mul_hi_u32 v11, v1, v2
	v_mul_lo_u32 v2, v1, v2
	v_add_co_u32 v6, vcc_lo, v6, v7
	v_add_co_ci_u32_e32 v7, vcc_lo, 0, v8, vcc_lo
	s_delay_alu instid0(VALU_DEP_2) | instskip(NEXT) | instid1(VALU_DEP_2)
	v_add_co_u32 v3, vcc_lo, v6, v3
	v_add_co_ci_u32_e32 v3, vcc_lo, v7, v9, vcc_lo
	v_add_co_ci_u32_e32 v6, vcc_lo, 0, v11, vcc_lo
	s_delay_alu instid0(VALU_DEP_2) | instskip(NEXT) | instid1(VALU_DEP_2)
	v_add_co_u32 v2, vcc_lo, v3, v2
	v_add_co_ci_u32_e32 v3, vcc_lo, 0, v6, vcc_lo
	s_delay_alu instid0(VALU_DEP_2) | instskip(NEXT) | instid1(VALU_DEP_2)
	v_add_co_u32 v0, vcc_lo, v0, v2
	v_add_co_ci_u32_e32 v1, vcc_lo, v1, v3, vcc_lo
	s_delay_alu instid0(VALU_DEP_2) | instskip(SKIP_1) | instid1(VALU_DEP_3)
	v_mul_hi_u32 v2, s2, v0
	v_mul_lo_u32 v6, s5, v0
	v_mul_lo_u32 v3, s2, v1
	s_delay_alu instid0(VALU_DEP_1) | instskip(SKIP_1) | instid1(VALU_DEP_2)
	v_add_nc_u32_e32 v2, v2, v3
	v_mul_lo_u32 v3, s2, v0
	v_add_nc_u32_e32 v2, v2, v6
	s_delay_alu instid0(VALU_DEP_2) | instskip(NEXT) | instid1(VALU_DEP_2)
	v_mul_hi_u32 v6, v0, v3
	v_mul_lo_u32 v7, v0, v2
	v_mul_hi_u32 v8, v0, v2
	v_mul_hi_u32 v9, v1, v3
	v_mul_lo_u32 v3, v1, v3
	v_mul_hi_u32 v11, v1, v2
	v_mul_lo_u32 v2, v1, v2
	v_add_co_u32 v6, vcc_lo, v6, v7
	v_add_co_ci_u32_e32 v7, vcc_lo, 0, v8, vcc_lo
	s_delay_alu instid0(VALU_DEP_2) | instskip(NEXT) | instid1(VALU_DEP_2)
	v_add_co_u32 v3, vcc_lo, v6, v3
	v_add_co_ci_u32_e32 v3, vcc_lo, v7, v9, vcc_lo
	v_add_co_ci_u32_e32 v6, vcc_lo, 0, v11, vcc_lo
	v_add_co_u32 v7, vcc_lo, v4, v10
	v_add_co_ci_u32_e32 v8, vcc_lo, v5, v10, vcc_lo
	s_delay_alu instid0(VALU_DEP_4) | instskip(NEXT) | instid1(VALU_DEP_4)
	v_add_co_u32 v2, vcc_lo, v3, v2
	v_add_co_ci_u32_e32 v3, vcc_lo, 0, v6, vcc_lo
	s_delay_alu instid0(VALU_DEP_4) | instskip(NEXT) | instid1(VALU_DEP_3)
	v_xor_b32_e32 v9, v7, v10
	v_add_co_u32 v6, vcc_lo, v0, v2
	s_delay_alu instid0(VALU_DEP_3) | instskip(SKIP_1) | instid1(VALU_DEP_3)
	v_add_co_ci_u32_e32 v11, vcc_lo, v1, v3, vcc_lo
	v_xor_b32_e32 v8, v8, v10
	v_mul_hi_u32 v12, v9, v6
	s_delay_alu instid0(VALU_DEP_3) | instskip(NEXT) | instid1(VALU_DEP_3)
	v_mad_u64_u32 v[0:1], null, v9, v11, 0
	v_mad_u64_u32 v[2:3], null, v8, v6, 0
	;; [unrolled: 1-line block ×3, first 2 shown]
	s_delay_alu instid0(VALU_DEP_3) | instskip(NEXT) | instid1(VALU_DEP_4)
	v_add_co_u32 v0, vcc_lo, v12, v0
	v_add_co_ci_u32_e32 v1, vcc_lo, 0, v1, vcc_lo
	s_delay_alu instid0(VALU_DEP_2) | instskip(NEXT) | instid1(VALU_DEP_2)
	v_add_co_u32 v0, vcc_lo, v0, v2
	v_add_co_ci_u32_e32 v0, vcc_lo, v1, v3, vcc_lo
	v_add_co_ci_u32_e32 v1, vcc_lo, 0, v7, vcc_lo
	s_delay_alu instid0(VALU_DEP_2) | instskip(NEXT) | instid1(VALU_DEP_2)
	v_add_co_u32 v2, vcc_lo, v0, v6
	v_add_co_ci_u32_e32 v3, vcc_lo, 0, v1, vcc_lo
	s_delay_alu instid0(VALU_DEP_2) | instskip(SKIP_1) | instid1(VALU_DEP_3)
	v_mul_lo_u32 v6, s7, v2
	v_mad_u64_u32 v[0:1], null, s6, v2, 0
	v_mul_lo_u32 v7, s6, v3
	s_delay_alu instid0(VALU_DEP_2) | instskip(NEXT) | instid1(VALU_DEP_2)
	v_sub_co_u32 v0, vcc_lo, v9, v0
	v_add3_u32 v1, v1, v7, v6
	s_delay_alu instid0(VALU_DEP_1) | instskip(NEXT) | instid1(VALU_DEP_1)
	v_sub_nc_u32_e32 v6, v8, v1
	v_subrev_co_ci_u32_e64 v6, s2, s7, v6, vcc_lo
	v_add_co_u32 v7, s2, v2, 2
	s_delay_alu instid0(VALU_DEP_1) | instskip(SKIP_3) | instid1(VALU_DEP_3)
	v_add_co_ci_u32_e64 v9, s2, 0, v3, s2
	v_sub_co_u32 v11, s2, v0, s6
	v_sub_co_ci_u32_e32 v1, vcc_lo, v8, v1, vcc_lo
	v_subrev_co_ci_u32_e64 v6, s2, 0, v6, s2
	v_cmp_le_u32_e32 vcc_lo, s6, v11
	s_delay_alu instid0(VALU_DEP_3) | instskip(SKIP_1) | instid1(VALU_DEP_4)
	v_cmp_eq_u32_e64 s2, s7, v1
	v_cndmask_b32_e64 v8, 0, -1, vcc_lo
	v_cmp_le_u32_e32 vcc_lo, s7, v6
	v_cndmask_b32_e64 v11, 0, -1, vcc_lo
	v_cmp_le_u32_e32 vcc_lo, s6, v0
	;; [unrolled: 2-line block ×3, first 2 shown]
	v_cndmask_b32_e64 v12, 0, -1, vcc_lo
	v_cmp_eq_u32_e32 vcc_lo, s7, v6
	s_delay_alu instid0(VALU_DEP_2) | instskip(SKIP_3) | instid1(VALU_DEP_3)
	v_cndmask_b32_e64 v0, v12, v0, s2
	v_cndmask_b32_e32 v6, v11, v8, vcc_lo
	v_add_co_u32 v8, vcc_lo, v2, 1
	v_add_co_ci_u32_e32 v11, vcc_lo, 0, v3, vcc_lo
	v_cmp_ne_u32_e32 vcc_lo, 0, v6
	s_delay_alu instid0(VALU_DEP_2) | instskip(SKIP_2) | instid1(VALU_DEP_3)
	v_dual_cndmask_b32 v1, v11, v9 :: v_dual_cndmask_b32 v6, v8, v7
	v_cmp_ne_u32_e32 vcc_lo, 0, v0
	v_xor_b32_e32 v7, s4, v10
	v_dual_cndmask_b32 v0, v3, v1 :: v_dual_cndmask_b32 v1, v2, v6
	s_delay_alu instid0(VALU_DEP_1) | instskip(NEXT) | instid1(VALU_DEP_2)
	v_xor_b32_e32 v2, v0, v7
	v_xor_b32_e32 v1, v1, v7
	s_delay_alu instid0(VALU_DEP_1) | instskip(NEXT) | instid1(VALU_DEP_3)
	v_sub_co_u32 v0, vcc_lo, v1, v7
	v_sub_co_ci_u32_e32 v1, vcc_lo, v2, v7, vcc_lo
.LBB34_3:
	s_and_not1_saveexec_b32 s2, s11
	s_cbranch_execz .LBB34_5
; %bb.4:
	v_cvt_f32_u32_e32 v0, s10
	s_sub_i32 s4, 0, s10
	s_delay_alu instid0(VALU_DEP_1) | instskip(SKIP_2) | instid1(VALU_DEP_1)
	v_rcp_iflag_f32_e32 v0, v0
	s_waitcnt_depctr 0xfff
	v_mul_f32_e32 v0, 0x4f7ffffe, v0
	v_cvt_u32_f32_e32 v0, v0
	s_delay_alu instid0(VALU_DEP_1) | instskip(NEXT) | instid1(VALU_DEP_1)
	v_mul_lo_u32 v1, s4, v0
	v_mul_hi_u32 v1, v0, v1
	s_delay_alu instid0(VALU_DEP_1) | instskip(NEXT) | instid1(VALU_DEP_1)
	v_add_nc_u32_e32 v0, v0, v1
	v_mul_hi_u32 v0, v4, v0
	s_delay_alu instid0(VALU_DEP_1) | instskip(SKIP_1) | instid1(VALU_DEP_2)
	v_mul_lo_u32 v1, v0, s10
	v_add_nc_u32_e32 v2, 1, v0
	v_sub_nc_u32_e32 v1, v4, v1
	s_delay_alu instid0(VALU_DEP_1) | instskip(SKIP_1) | instid1(VALU_DEP_2)
	v_subrev_nc_u32_e32 v3, s10, v1
	v_cmp_le_u32_e32 vcc_lo, s10, v1
	v_dual_cndmask_b32 v1, v1, v3 :: v_dual_cndmask_b32 v0, v0, v2
	s_delay_alu instid0(VALU_DEP_1) | instskip(NEXT) | instid1(VALU_DEP_2)
	v_cmp_le_u32_e32 vcc_lo, s10, v1
	v_dual_mov_b32 v1, 0 :: v_dual_add_nc_u32 v2, 1, v0
	s_delay_alu instid0(VALU_DEP_1)
	v_cndmask_b32_e32 v0, v0, v2, vcc_lo
.LBB34_5:
	s_or_b32 exec_lo, exec_lo, s2
	s_delay_alu instid0(VALU_DEP_1) | instskip(NEXT) | instid1(VALU_DEP_2)
	v_mul_lo_u32 v6, s9, v0
	v_mul_lo_u32 v7, s10, v1
	v_mad_u64_u32 v[2:3], null, s10, v0, 0
	s_delay_alu instid0(VALU_DEP_1) | instskip(NEXT) | instid1(VALU_DEP_2)
	v_add3_u32 v3, v3, v7, v6
	v_sub_co_u32 v6, vcc_lo, v4, v2
	v_mov_b32_e32 v2, 0
	s_delay_alu instid0(VALU_DEP_3) | instskip(NEXT) | instid1(VALU_DEP_1)
	v_sub_co_ci_u32_e32 v7, vcc_lo, v5, v3, vcc_lo
	v_or_b32_e32 v3, s8, v7
	s_delay_alu instid0(VALU_DEP_1) | instskip(SKIP_1) | instid1(SALU_CYCLE_1)
	v_cmp_ne_u64_e32 vcc_lo, 0, v[2:3]
                                        ; implicit-def: $vgpr2_vgpr3
	s_and_saveexec_b32 s2, vcc_lo
	s_xor_b32 s9, exec_lo, s2
	s_cbranch_execz .LBB34_7
; %bb.6:
	s_ashr_i32 s4, s8, 31
	s_delay_alu instid0(SALU_CYCLE_1) | instskip(SKIP_2) | instid1(SALU_CYCLE_1)
	s_add_u32 s6, s3, s4
	s_mov_b32 s5, s4
	s_addc_u32 s7, s8, s4
	s_xor_b64 s[6:7], s[6:7], s[4:5]
	s_delay_alu instid0(SALU_CYCLE_1) | instskip(SKIP_3) | instid1(VALU_DEP_1)
	v_cvt_f32_u32_e32 v2, s6
	v_cvt_f32_u32_e32 v3, s7
	s_sub_u32 s2, 0, s6
	s_subb_u32 s5, 0, s7
	v_fmamk_f32 v2, v3, 0x4f800000, v2
	s_delay_alu instid0(VALU_DEP_1) | instskip(SKIP_2) | instid1(VALU_DEP_1)
	v_rcp_f32_e32 v2, v2
	s_waitcnt_depctr 0xfff
	v_mul_f32_e32 v2, 0x5f7ffffc, v2
	v_mul_f32_e32 v3, 0x2f800000, v2
	s_delay_alu instid0(VALU_DEP_1) | instskip(NEXT) | instid1(VALU_DEP_1)
	v_trunc_f32_e32 v3, v3
	v_fmamk_f32 v2, v3, 0xcf800000, v2
	v_cvt_u32_f32_e32 v3, v3
	s_delay_alu instid0(VALU_DEP_2) | instskip(NEXT) | instid1(VALU_DEP_2)
	v_cvt_u32_f32_e32 v2, v2
	v_mul_lo_u32 v8, s2, v3
	s_delay_alu instid0(VALU_DEP_2) | instskip(SKIP_1) | instid1(VALU_DEP_2)
	v_mul_hi_u32 v9, s2, v2
	v_mul_lo_u32 v11, s5, v2
	v_add_nc_u32_e32 v8, v9, v8
	v_mul_lo_u32 v9, s2, v2
	s_delay_alu instid0(VALU_DEP_2) | instskip(NEXT) | instid1(VALU_DEP_2)
	v_add_nc_u32_e32 v8, v8, v11
	v_mul_hi_u32 v11, v2, v9
	s_delay_alu instid0(VALU_DEP_2)
	v_mul_lo_u32 v12, v2, v8
	v_mul_hi_u32 v13, v2, v8
	v_mul_hi_u32 v14, v3, v9
	v_mul_lo_u32 v9, v3, v9
	v_mul_hi_u32 v15, v3, v8
	v_mul_lo_u32 v8, v3, v8
	v_add_co_u32 v11, vcc_lo, v11, v12
	v_add_co_ci_u32_e32 v12, vcc_lo, 0, v13, vcc_lo
	s_delay_alu instid0(VALU_DEP_2) | instskip(NEXT) | instid1(VALU_DEP_2)
	v_add_co_u32 v9, vcc_lo, v11, v9
	v_add_co_ci_u32_e32 v9, vcc_lo, v12, v14, vcc_lo
	v_add_co_ci_u32_e32 v11, vcc_lo, 0, v15, vcc_lo
	v_ashrrev_i32_e32 v14, 31, v7
	s_delay_alu instid0(VALU_DEP_3) | instskip(NEXT) | instid1(VALU_DEP_3)
	v_add_co_u32 v8, vcc_lo, v9, v8
	v_add_co_ci_u32_e32 v9, vcc_lo, 0, v11, vcc_lo
	s_delay_alu instid0(VALU_DEP_2) | instskip(NEXT) | instid1(VALU_DEP_2)
	v_add_co_u32 v2, vcc_lo, v2, v8
	v_add_co_ci_u32_e32 v3, vcc_lo, v3, v9, vcc_lo
	s_delay_alu instid0(VALU_DEP_2) | instskip(SKIP_1) | instid1(VALU_DEP_3)
	v_mul_hi_u32 v8, s2, v2
	v_mul_lo_u32 v11, s5, v2
	v_mul_lo_u32 v9, s2, v3
	s_delay_alu instid0(VALU_DEP_1) | instskip(SKIP_1) | instid1(VALU_DEP_2)
	v_add_nc_u32_e32 v8, v8, v9
	v_mul_lo_u32 v9, s2, v2
	v_add_nc_u32_e32 v8, v8, v11
	s_delay_alu instid0(VALU_DEP_2) | instskip(NEXT) | instid1(VALU_DEP_2)
	v_mul_hi_u32 v11, v2, v9
	v_mul_lo_u32 v12, v2, v8
	v_mul_hi_u32 v13, v2, v8
	v_mul_hi_u32 v15, v3, v9
	v_mul_lo_u32 v9, v3, v9
	v_mul_hi_u32 v16, v3, v8
	v_mul_lo_u32 v8, v3, v8
	v_add_co_u32 v11, vcc_lo, v11, v12
	v_add_co_ci_u32_e32 v12, vcc_lo, 0, v13, vcc_lo
	s_delay_alu instid0(VALU_DEP_2) | instskip(NEXT) | instid1(VALU_DEP_2)
	v_add_co_u32 v9, vcc_lo, v11, v9
	v_add_co_ci_u32_e32 v9, vcc_lo, v12, v15, vcc_lo
	v_add_co_ci_u32_e32 v11, vcc_lo, 0, v16, vcc_lo
	v_add_co_u32 v12, vcc_lo, v6, v14
	v_add_co_ci_u32_e32 v13, vcc_lo, v7, v14, vcc_lo
	s_delay_alu instid0(VALU_DEP_4) | instskip(NEXT) | instid1(VALU_DEP_4)
	v_add_co_u32 v8, vcc_lo, v9, v8
	v_add_co_ci_u32_e32 v9, vcc_lo, 0, v11, vcc_lo
	s_delay_alu instid0(VALU_DEP_4) | instskip(NEXT) | instid1(VALU_DEP_3)
	v_xor_b32_e32 v15, v12, v14
	v_add_co_u32 v11, vcc_lo, v2, v8
	s_delay_alu instid0(VALU_DEP_3) | instskip(SKIP_1) | instid1(VALU_DEP_3)
	v_add_co_ci_u32_e32 v16, vcc_lo, v3, v9, vcc_lo
	v_xor_b32_e32 v13, v13, v14
	v_mul_hi_u32 v17, v15, v11
	s_delay_alu instid0(VALU_DEP_3) | instskip(NEXT) | instid1(VALU_DEP_3)
	v_mad_u64_u32 v[2:3], null, v15, v16, 0
	v_mad_u64_u32 v[8:9], null, v13, v11, 0
	;; [unrolled: 1-line block ×3, first 2 shown]
	s_delay_alu instid0(VALU_DEP_3) | instskip(NEXT) | instid1(VALU_DEP_4)
	v_add_co_u32 v2, vcc_lo, v17, v2
	v_add_co_ci_u32_e32 v3, vcc_lo, 0, v3, vcc_lo
	s_delay_alu instid0(VALU_DEP_2) | instskip(NEXT) | instid1(VALU_DEP_2)
	v_add_co_u32 v2, vcc_lo, v2, v8
	v_add_co_ci_u32_e32 v2, vcc_lo, v3, v9, vcc_lo
	v_add_co_ci_u32_e32 v3, vcc_lo, 0, v12, vcc_lo
	s_delay_alu instid0(VALU_DEP_2) | instskip(NEXT) | instid1(VALU_DEP_2)
	v_add_co_u32 v8, vcc_lo, v2, v11
	v_add_co_ci_u32_e32 v9, vcc_lo, 0, v3, vcc_lo
	s_delay_alu instid0(VALU_DEP_2) | instskip(SKIP_1) | instid1(VALU_DEP_3)
	v_mul_lo_u32 v11, s7, v8
	v_mad_u64_u32 v[2:3], null, s6, v8, 0
	v_mul_lo_u32 v12, s6, v9
	s_delay_alu instid0(VALU_DEP_2) | instskip(NEXT) | instid1(VALU_DEP_2)
	v_sub_co_u32 v2, vcc_lo, v15, v2
	v_add3_u32 v3, v3, v12, v11
	s_delay_alu instid0(VALU_DEP_1) | instskip(NEXT) | instid1(VALU_DEP_1)
	v_sub_nc_u32_e32 v11, v13, v3
	v_subrev_co_ci_u32_e64 v11, s2, s7, v11, vcc_lo
	v_add_co_u32 v12, s2, v8, 2
	s_delay_alu instid0(VALU_DEP_1) | instskip(SKIP_3) | instid1(VALU_DEP_3)
	v_add_co_ci_u32_e64 v15, s2, 0, v9, s2
	v_sub_co_u32 v16, s2, v2, s6
	v_sub_co_ci_u32_e32 v3, vcc_lo, v13, v3, vcc_lo
	v_subrev_co_ci_u32_e64 v11, s2, 0, v11, s2
	v_cmp_le_u32_e32 vcc_lo, s6, v16
	s_delay_alu instid0(VALU_DEP_3) | instskip(SKIP_1) | instid1(VALU_DEP_4)
	v_cmp_eq_u32_e64 s2, s7, v3
	v_cndmask_b32_e64 v13, 0, -1, vcc_lo
	v_cmp_le_u32_e32 vcc_lo, s7, v11
	v_cndmask_b32_e64 v16, 0, -1, vcc_lo
	v_cmp_le_u32_e32 vcc_lo, s6, v2
	;; [unrolled: 2-line block ×3, first 2 shown]
	v_cndmask_b32_e64 v17, 0, -1, vcc_lo
	v_cmp_eq_u32_e32 vcc_lo, s7, v11
	s_delay_alu instid0(VALU_DEP_2) | instskip(SKIP_3) | instid1(VALU_DEP_3)
	v_cndmask_b32_e64 v2, v17, v2, s2
	v_cndmask_b32_e32 v11, v16, v13, vcc_lo
	v_add_co_u32 v13, vcc_lo, v8, 1
	v_add_co_ci_u32_e32 v16, vcc_lo, 0, v9, vcc_lo
	v_cmp_ne_u32_e32 vcc_lo, 0, v11
	s_delay_alu instid0(VALU_DEP_3) | instskip(NEXT) | instid1(VALU_DEP_3)
	v_cndmask_b32_e32 v11, v13, v12, vcc_lo
	v_cndmask_b32_e32 v3, v16, v15, vcc_lo
	v_cmp_ne_u32_e32 vcc_lo, 0, v2
	v_xor_b32_e32 v12, s4, v14
	s_delay_alu instid0(VALU_DEP_3) | instskip(SKIP_1) | instid1(VALU_DEP_2)
	v_cndmask_b32_e32 v2, v9, v3, vcc_lo
	v_cndmask_b32_e32 v3, v8, v11, vcc_lo
	v_xor_b32_e32 v8, v2, v12
	s_delay_alu instid0(VALU_DEP_2) | instskip(NEXT) | instid1(VALU_DEP_1)
	v_xor_b32_e32 v3, v3, v12
	v_sub_co_u32 v2, vcc_lo, v3, v12
	s_delay_alu instid0(VALU_DEP_3)
	v_sub_co_ci_u32_e32 v3, vcc_lo, v8, v12, vcc_lo
.LBB34_7:
	s_and_not1_saveexec_b32 s2, s9
	s_cbranch_execz .LBB34_9
; %bb.8:
	v_cvt_f32_u32_e32 v2, s3
	s_sub_i32 s4, 0, s3
	s_delay_alu instid0(VALU_DEP_1) | instskip(SKIP_2) | instid1(VALU_DEP_1)
	v_rcp_iflag_f32_e32 v2, v2
	s_waitcnt_depctr 0xfff
	v_mul_f32_e32 v2, 0x4f7ffffe, v2
	v_cvt_u32_f32_e32 v2, v2
	s_delay_alu instid0(VALU_DEP_1) | instskip(NEXT) | instid1(VALU_DEP_1)
	v_mul_lo_u32 v3, s4, v2
	v_mul_hi_u32 v3, v2, v3
	s_delay_alu instid0(VALU_DEP_1) | instskip(NEXT) | instid1(VALU_DEP_1)
	v_add_nc_u32_e32 v2, v2, v3
	v_mul_hi_u32 v2, v6, v2
	s_delay_alu instid0(VALU_DEP_1) | instskip(SKIP_1) | instid1(VALU_DEP_2)
	v_mul_lo_u32 v3, v2, s3
	v_add_nc_u32_e32 v8, 1, v2
	v_sub_nc_u32_e32 v3, v6, v3
	s_delay_alu instid0(VALU_DEP_1) | instskip(SKIP_1) | instid1(VALU_DEP_2)
	v_subrev_nc_u32_e32 v9, s3, v3
	v_cmp_le_u32_e32 vcc_lo, s3, v3
	v_dual_cndmask_b32 v3, v3, v9 :: v_dual_cndmask_b32 v2, v2, v8
	s_delay_alu instid0(VALU_DEP_1) | instskip(NEXT) | instid1(VALU_DEP_2)
	v_cmp_le_u32_e32 vcc_lo, s3, v3
	v_dual_mov_b32 v3, 0 :: v_dual_add_nc_u32 v8, 1, v2
	s_delay_alu instid0(VALU_DEP_1)
	v_cndmask_b32_e32 v2, v2, v8, vcc_lo
.LBB34_9:
	s_or_b32 exec_lo, exec_lo, s2
	s_delay_alu instid0(VALU_DEP_1) | instskip(NEXT) | instid1(VALU_DEP_2)
	v_mul_lo_u32 v11, s8, v2
	v_mul_lo_u32 v12, s3, v3
	v_mad_u64_u32 v[8:9], null, s3, v2, 0
	s_delay_alu instid0(VALU_DEP_1) | instskip(NEXT) | instid1(VALU_DEP_2)
	v_add3_u32 v9, v9, v12, v11
	v_sub_co_u32 v12, vcc_lo, v6, v8
	v_mov_b32_e32 v6, 0
	s_delay_alu instid0(VALU_DEP_3) | instskip(NEXT) | instid1(VALU_DEP_1)
	v_sub_co_ci_u32_e32 v13, vcc_lo, v7, v9, vcc_lo
	v_or_b32_e32 v7, s23, v13
	s_delay_alu instid0(VALU_DEP_1) | instskip(SKIP_1) | instid1(SALU_CYCLE_1)
	v_cmp_ne_u64_e32 vcc_lo, 0, v[6:7]
                                        ; implicit-def: $vgpr6_vgpr7
	s_and_saveexec_b32 s2, vcc_lo
	s_xor_b32 s3, exec_lo, s2
	s_cbranch_execz .LBB34_11
; %bb.10:
	s_ashr_i32 s4, s23, 31
	s_delay_alu instid0(SALU_CYCLE_1) | instskip(SKIP_2) | instid1(SALU_CYCLE_1)
	s_add_u32 s6, s22, s4
	s_mov_b32 s5, s4
	s_addc_u32 s7, s23, s4
	s_xor_b64 s[6:7], s[6:7], s[4:5]
	s_delay_alu instid0(SALU_CYCLE_1) | instskip(SKIP_3) | instid1(VALU_DEP_1)
	v_cvt_f32_u32_e32 v6, s6
	v_cvt_f32_u32_e32 v7, s7
	s_sub_u32 s2, 0, s6
	s_subb_u32 s5, 0, s7
	v_fmamk_f32 v6, v7, 0x4f800000, v6
	s_delay_alu instid0(VALU_DEP_1) | instskip(SKIP_2) | instid1(VALU_DEP_1)
	v_rcp_f32_e32 v6, v6
	s_waitcnt_depctr 0xfff
	v_mul_f32_e32 v6, 0x5f7ffffc, v6
	v_mul_f32_e32 v7, 0x2f800000, v6
	s_delay_alu instid0(VALU_DEP_1) | instskip(NEXT) | instid1(VALU_DEP_1)
	v_trunc_f32_e32 v7, v7
	v_fmamk_f32 v6, v7, 0xcf800000, v6
	v_cvt_u32_f32_e32 v7, v7
	s_delay_alu instid0(VALU_DEP_2) | instskip(NEXT) | instid1(VALU_DEP_2)
	v_cvt_u32_f32_e32 v6, v6
	v_mul_lo_u32 v8, s2, v7
	s_delay_alu instid0(VALU_DEP_2) | instskip(SKIP_1) | instid1(VALU_DEP_2)
	v_mul_hi_u32 v9, s2, v6
	v_mul_lo_u32 v11, s5, v6
	v_add_nc_u32_e32 v8, v9, v8
	v_mul_lo_u32 v9, s2, v6
	s_delay_alu instid0(VALU_DEP_2) | instskip(NEXT) | instid1(VALU_DEP_2)
	v_add_nc_u32_e32 v8, v8, v11
	v_mul_hi_u32 v11, v6, v9
	s_delay_alu instid0(VALU_DEP_2)
	v_mul_lo_u32 v14, v6, v8
	v_mul_hi_u32 v15, v6, v8
	v_mul_hi_u32 v16, v7, v9
	v_mul_lo_u32 v9, v7, v9
	v_mul_hi_u32 v17, v7, v8
	v_mul_lo_u32 v8, v7, v8
	v_add_co_u32 v11, vcc_lo, v11, v14
	v_add_co_ci_u32_e32 v14, vcc_lo, 0, v15, vcc_lo
	s_delay_alu instid0(VALU_DEP_2) | instskip(NEXT) | instid1(VALU_DEP_2)
	v_add_co_u32 v9, vcc_lo, v11, v9
	v_add_co_ci_u32_e32 v9, vcc_lo, v14, v16, vcc_lo
	v_add_co_ci_u32_e32 v11, vcc_lo, 0, v17, vcc_lo
	v_ashrrev_i32_e32 v16, 31, v13
	s_delay_alu instid0(VALU_DEP_3) | instskip(NEXT) | instid1(VALU_DEP_3)
	v_add_co_u32 v8, vcc_lo, v9, v8
	v_add_co_ci_u32_e32 v9, vcc_lo, 0, v11, vcc_lo
	s_delay_alu instid0(VALU_DEP_2) | instskip(NEXT) | instid1(VALU_DEP_2)
	v_add_co_u32 v6, vcc_lo, v6, v8
	v_add_co_ci_u32_e32 v7, vcc_lo, v7, v9, vcc_lo
	s_delay_alu instid0(VALU_DEP_2) | instskip(SKIP_1) | instid1(VALU_DEP_3)
	v_mul_hi_u32 v8, s2, v6
	v_mul_lo_u32 v11, s5, v6
	v_mul_lo_u32 v9, s2, v7
	s_delay_alu instid0(VALU_DEP_1) | instskip(SKIP_1) | instid1(VALU_DEP_2)
	v_add_nc_u32_e32 v8, v8, v9
	v_mul_lo_u32 v9, s2, v6
	v_add_nc_u32_e32 v8, v8, v11
	s_delay_alu instid0(VALU_DEP_2) | instskip(NEXT) | instid1(VALU_DEP_2)
	v_mul_hi_u32 v11, v6, v9
	v_mul_lo_u32 v14, v6, v8
	v_mul_hi_u32 v15, v6, v8
	v_mul_hi_u32 v17, v7, v9
	v_mul_lo_u32 v9, v7, v9
	v_mul_hi_u32 v18, v7, v8
	v_mul_lo_u32 v8, v7, v8
	v_add_co_u32 v11, vcc_lo, v11, v14
	v_add_co_ci_u32_e32 v14, vcc_lo, 0, v15, vcc_lo
	s_delay_alu instid0(VALU_DEP_2) | instskip(NEXT) | instid1(VALU_DEP_2)
	v_add_co_u32 v9, vcc_lo, v11, v9
	v_add_co_ci_u32_e32 v9, vcc_lo, v14, v17, vcc_lo
	v_add_co_ci_u32_e32 v11, vcc_lo, 0, v18, vcc_lo
	v_add_co_u32 v14, vcc_lo, v12, v16
	v_add_co_ci_u32_e32 v15, vcc_lo, v13, v16, vcc_lo
	s_delay_alu instid0(VALU_DEP_4) | instskip(NEXT) | instid1(VALU_DEP_4)
	v_add_co_u32 v8, vcc_lo, v9, v8
	v_add_co_ci_u32_e32 v9, vcc_lo, 0, v11, vcc_lo
	s_delay_alu instid0(VALU_DEP_4) | instskip(NEXT) | instid1(VALU_DEP_3)
	v_xor_b32_e32 v11, v14, v16
	v_add_co_u32 v14, vcc_lo, v6, v8
	s_delay_alu instid0(VALU_DEP_3) | instskip(SKIP_1) | instid1(VALU_DEP_3)
	v_add_co_ci_u32_e32 v17, vcc_lo, v7, v9, vcc_lo
	v_xor_b32_e32 v18, v15, v16
	v_mul_hi_u32 v19, v11, v14
	s_delay_alu instid0(VALU_DEP_3) | instskip(NEXT) | instid1(VALU_DEP_3)
	v_mad_u64_u32 v[6:7], null, v11, v17, 0
	v_mad_u64_u32 v[8:9], null, v18, v14, 0
	;; [unrolled: 1-line block ×3, first 2 shown]
	s_delay_alu instid0(VALU_DEP_3) | instskip(NEXT) | instid1(VALU_DEP_4)
	v_add_co_u32 v6, vcc_lo, v19, v6
	v_add_co_ci_u32_e32 v7, vcc_lo, 0, v7, vcc_lo
	s_delay_alu instid0(VALU_DEP_2) | instskip(NEXT) | instid1(VALU_DEP_2)
	v_add_co_u32 v6, vcc_lo, v6, v8
	v_add_co_ci_u32_e32 v6, vcc_lo, v7, v9, vcc_lo
	v_add_co_ci_u32_e32 v7, vcc_lo, 0, v15, vcc_lo
	s_delay_alu instid0(VALU_DEP_2) | instskip(NEXT) | instid1(VALU_DEP_2)
	v_add_co_u32 v8, vcc_lo, v6, v14
	v_add_co_ci_u32_e32 v9, vcc_lo, 0, v7, vcc_lo
	s_delay_alu instid0(VALU_DEP_2) | instskip(SKIP_1) | instid1(VALU_DEP_3)
	v_mul_lo_u32 v14, s7, v8
	v_mad_u64_u32 v[6:7], null, s6, v8, 0
	v_mul_lo_u32 v15, s6, v9
	s_delay_alu instid0(VALU_DEP_2) | instskip(NEXT) | instid1(VALU_DEP_2)
	v_sub_co_u32 v6, vcc_lo, v11, v6
	v_add3_u32 v7, v7, v15, v14
	s_delay_alu instid0(VALU_DEP_1) | instskip(NEXT) | instid1(VALU_DEP_1)
	v_sub_nc_u32_e32 v14, v18, v7
	v_subrev_co_ci_u32_e64 v11, s2, s7, v14, vcc_lo
	v_add_co_u32 v14, s2, v8, 2
	s_delay_alu instid0(VALU_DEP_1) | instskip(SKIP_3) | instid1(VALU_DEP_3)
	v_add_co_ci_u32_e64 v15, s2, 0, v9, s2
	v_sub_co_u32 v17, s2, v6, s6
	v_sub_co_ci_u32_e32 v7, vcc_lo, v18, v7, vcc_lo
	v_subrev_co_ci_u32_e64 v11, s2, 0, v11, s2
	v_cmp_le_u32_e32 vcc_lo, s6, v17
	s_delay_alu instid0(VALU_DEP_3) | instskip(SKIP_1) | instid1(VALU_DEP_4)
	v_cmp_eq_u32_e64 s2, s7, v7
	v_cndmask_b32_e64 v17, 0, -1, vcc_lo
	v_cmp_le_u32_e32 vcc_lo, s7, v11
	v_cndmask_b32_e64 v18, 0, -1, vcc_lo
	v_cmp_le_u32_e32 vcc_lo, s6, v6
	;; [unrolled: 2-line block ×3, first 2 shown]
	v_cndmask_b32_e64 v19, 0, -1, vcc_lo
	v_cmp_eq_u32_e32 vcc_lo, s7, v11
	s_delay_alu instid0(VALU_DEP_2) | instskip(SKIP_3) | instid1(VALU_DEP_3)
	v_cndmask_b32_e64 v6, v19, v6, s2
	v_cndmask_b32_e32 v11, v18, v17, vcc_lo
	v_add_co_u32 v17, vcc_lo, v8, 1
	v_add_co_ci_u32_e32 v18, vcc_lo, 0, v9, vcc_lo
	v_cmp_ne_u32_e32 vcc_lo, 0, v11
	s_delay_alu instid0(VALU_DEP_3) | instskip(NEXT) | instid1(VALU_DEP_3)
	v_cndmask_b32_e32 v11, v17, v14, vcc_lo
	v_cndmask_b32_e32 v7, v18, v15, vcc_lo
	v_cmp_ne_u32_e32 vcc_lo, 0, v6
	v_xor_b32_e32 v14, s4, v16
	s_delay_alu instid0(VALU_DEP_3) | instskip(SKIP_1) | instid1(VALU_DEP_2)
	v_cndmask_b32_e32 v6, v9, v7, vcc_lo
	v_cndmask_b32_e32 v7, v8, v11, vcc_lo
	v_xor_b32_e32 v8, v6, v14
	s_delay_alu instid0(VALU_DEP_2) | instskip(NEXT) | instid1(VALU_DEP_1)
	v_xor_b32_e32 v7, v7, v14
	v_sub_co_u32 v6, vcc_lo, v7, v14
	s_delay_alu instid0(VALU_DEP_3)
	v_sub_co_ci_u32_e32 v7, vcc_lo, v8, v14, vcc_lo
.LBB34_11:
	s_and_not1_saveexec_b32 s2, s3
	s_cbranch_execz .LBB34_13
; %bb.12:
	v_cvt_f32_u32_e32 v6, s22
	s_sub_i32 s3, 0, s22
	s_delay_alu instid0(VALU_DEP_1) | instskip(SKIP_2) | instid1(VALU_DEP_1)
	v_rcp_iflag_f32_e32 v6, v6
	s_waitcnt_depctr 0xfff
	v_mul_f32_e32 v6, 0x4f7ffffe, v6
	v_cvt_u32_f32_e32 v6, v6
	s_delay_alu instid0(VALU_DEP_1) | instskip(NEXT) | instid1(VALU_DEP_1)
	v_mul_lo_u32 v7, s3, v6
	v_mul_hi_u32 v7, v6, v7
	s_delay_alu instid0(VALU_DEP_1) | instskip(NEXT) | instid1(VALU_DEP_1)
	v_add_nc_u32_e32 v6, v6, v7
	v_mul_hi_u32 v6, v12, v6
	s_delay_alu instid0(VALU_DEP_1) | instskip(SKIP_1) | instid1(VALU_DEP_2)
	v_mul_lo_u32 v7, v6, s22
	v_add_nc_u32_e32 v8, 1, v6
	v_sub_nc_u32_e32 v7, v12, v7
	s_delay_alu instid0(VALU_DEP_1) | instskip(SKIP_1) | instid1(VALU_DEP_2)
	v_subrev_nc_u32_e32 v9, s22, v7
	v_cmp_le_u32_e32 vcc_lo, s22, v7
	v_dual_cndmask_b32 v7, v7, v9 :: v_dual_cndmask_b32 v6, v6, v8
	s_delay_alu instid0(VALU_DEP_1) | instskip(NEXT) | instid1(VALU_DEP_2)
	v_cmp_le_u32_e32 vcc_lo, s22, v7
	v_dual_mov_b32 v7, 0 :: v_dual_add_nc_u32 v8, 1, v6
	s_delay_alu instid0(VALU_DEP_1)
	v_cndmask_b32_e32 v6, v6, v8, vcc_lo
.LBB34_13:
	s_or_b32 exec_lo, exec_lo, s2
	s_load_b512 s[36:51], s[0:1], 0x40
	v_mov_b32_e32 v8, 0
	s_waitcnt lgkmcnt(0)
	s_mul_i32 s2, s42, s41
	s_mul_hi_u32 s4, s42, s40
	s_mul_i32 s5, s43, s40
	s_mul_i32 s3, s42, s40
	s_add_i32 s8, s4, s2
	s_mul_i32 s2, s3, s45
	s_mul_hi_u32 s4, s3, s44
	s_add_i32 s8, s8, s5
	s_add_i32 s2, s4, s2
	s_mul_i32 s4, s8, s44
	s_mul_i32 s10, s3, s44
	s_add_i32 s9, s2, s4
	s_delay_alu instid0(SALU_CYCLE_1) | instskip(NEXT) | instid1(VALU_DEP_1)
	v_or_b32_e32 v9, s9, v5
	v_cmp_ne_u64_e32 vcc_lo, 0, v[8:9]
                                        ; implicit-def: $vgpr8_vgpr9
	s_and_saveexec_b32 s2, vcc_lo
	s_delay_alu instid0(SALU_CYCLE_1)
	s_xor_b32 s11, exec_lo, s2
	s_cbranch_execz .LBB34_15
; %bb.14:
	s_ashr_i32 s4, s9, 31
	s_delay_alu instid0(SALU_CYCLE_1) | instskip(SKIP_2) | instid1(SALU_CYCLE_1)
	s_add_u32 s6, s10, s4
	s_mov_b32 s5, s4
	s_addc_u32 s7, s9, s4
	s_xor_b64 s[6:7], s[6:7], s[4:5]
	s_delay_alu instid0(SALU_CYCLE_1) | instskip(SKIP_3) | instid1(VALU_DEP_1)
	v_cvt_f32_u32_e32 v8, s6
	v_cvt_f32_u32_e32 v9, s7
	s_sub_u32 s2, 0, s6
	s_subb_u32 s5, 0, s7
	v_fmamk_f32 v8, v9, 0x4f800000, v8
	s_delay_alu instid0(VALU_DEP_1) | instskip(SKIP_2) | instid1(VALU_DEP_1)
	v_rcp_f32_e32 v8, v8
	s_waitcnt_depctr 0xfff
	v_mul_f32_e32 v8, 0x5f7ffffc, v8
	v_mul_f32_e32 v9, 0x2f800000, v8
	s_delay_alu instid0(VALU_DEP_1) | instskip(NEXT) | instid1(VALU_DEP_1)
	v_trunc_f32_e32 v9, v9
	v_fmamk_f32 v8, v9, 0xcf800000, v8
	v_cvt_u32_f32_e32 v9, v9
	s_delay_alu instid0(VALU_DEP_2) | instskip(NEXT) | instid1(VALU_DEP_2)
	v_cvt_u32_f32_e32 v8, v8
	v_mul_lo_u32 v11, s2, v9
	s_delay_alu instid0(VALU_DEP_2) | instskip(SKIP_1) | instid1(VALU_DEP_2)
	v_mul_hi_u32 v14, s2, v8
	v_mul_lo_u32 v15, s5, v8
	v_add_nc_u32_e32 v11, v14, v11
	v_mul_lo_u32 v14, s2, v8
	s_delay_alu instid0(VALU_DEP_2) | instskip(NEXT) | instid1(VALU_DEP_2)
	v_add_nc_u32_e32 v11, v11, v15
	v_mul_hi_u32 v15, v8, v14
	s_delay_alu instid0(VALU_DEP_2)
	v_mul_lo_u32 v16, v8, v11
	v_mul_hi_u32 v17, v8, v11
	v_mul_hi_u32 v18, v9, v14
	v_mul_lo_u32 v14, v9, v14
	v_mul_hi_u32 v19, v9, v11
	v_mul_lo_u32 v11, v9, v11
	v_add_co_u32 v15, vcc_lo, v15, v16
	v_add_co_ci_u32_e32 v16, vcc_lo, 0, v17, vcc_lo
	s_delay_alu instid0(VALU_DEP_2) | instskip(NEXT) | instid1(VALU_DEP_2)
	v_add_co_u32 v14, vcc_lo, v15, v14
	v_add_co_ci_u32_e32 v14, vcc_lo, v16, v18, vcc_lo
	v_add_co_ci_u32_e32 v15, vcc_lo, 0, v19, vcc_lo
	s_delay_alu instid0(VALU_DEP_2) | instskip(NEXT) | instid1(VALU_DEP_2)
	v_add_co_u32 v11, vcc_lo, v14, v11
	v_add_co_ci_u32_e32 v14, vcc_lo, 0, v15, vcc_lo
	s_delay_alu instid0(VALU_DEP_2) | instskip(NEXT) | instid1(VALU_DEP_2)
	v_add_co_u32 v8, vcc_lo, v8, v11
	v_add_co_ci_u32_e32 v9, vcc_lo, v9, v14, vcc_lo
	s_delay_alu instid0(VALU_DEP_2) | instskip(SKIP_1) | instid1(VALU_DEP_3)
	v_mul_hi_u32 v11, s2, v8
	v_mul_lo_u32 v15, s5, v8
	v_mul_lo_u32 v14, s2, v9
	s_delay_alu instid0(VALU_DEP_1) | instskip(SKIP_1) | instid1(VALU_DEP_2)
	v_add_nc_u32_e32 v11, v11, v14
	v_mul_lo_u32 v14, s2, v8
	v_add_nc_u32_e32 v11, v11, v15
	s_delay_alu instid0(VALU_DEP_2) | instskip(NEXT) | instid1(VALU_DEP_2)
	v_mul_hi_u32 v15, v8, v14
	v_mul_lo_u32 v16, v8, v11
	v_mul_hi_u32 v17, v8, v11
	v_mul_hi_u32 v18, v9, v14
	v_mul_lo_u32 v14, v9, v14
	v_mul_hi_u32 v19, v9, v11
	v_mul_lo_u32 v11, v9, v11
	v_add_co_u32 v15, vcc_lo, v15, v16
	v_add_co_ci_u32_e32 v16, vcc_lo, 0, v17, vcc_lo
	s_delay_alu instid0(VALU_DEP_2) | instskip(NEXT) | instid1(VALU_DEP_2)
	v_add_co_u32 v14, vcc_lo, v15, v14
	v_add_co_ci_u32_e32 v14, vcc_lo, v16, v18, vcc_lo
	v_add_co_ci_u32_e32 v15, vcc_lo, 0, v19, vcc_lo
	v_add_co_u32 v16, vcc_lo, v4, v10
	v_add_co_ci_u32_e32 v17, vcc_lo, v5, v10, vcc_lo
	s_delay_alu instid0(VALU_DEP_4) | instskip(NEXT) | instid1(VALU_DEP_4)
	v_add_co_u32 v11, vcc_lo, v14, v11
	v_add_co_ci_u32_e32 v14, vcc_lo, 0, v15, vcc_lo
	s_delay_alu instid0(VALU_DEP_4) | instskip(NEXT) | instid1(VALU_DEP_3)
	v_xor_b32_e32 v18, v16, v10
	v_add_co_u32 v11, vcc_lo, v8, v11
	s_delay_alu instid0(VALU_DEP_3) | instskip(SKIP_1) | instid1(VALU_DEP_3)
	v_add_co_ci_u32_e32 v19, vcc_lo, v9, v14, vcc_lo
	v_xor_b32_e32 v20, v17, v10
	v_mul_hi_u32 v21, v18, v11
	v_xor_b32_e32 v10, s4, v10
	s_delay_alu instid0(VALU_DEP_4) | instskip(NEXT) | instid1(VALU_DEP_4)
	v_mad_u64_u32 v[8:9], null, v18, v19, 0
	v_mad_u64_u32 v[14:15], null, v20, v11, 0
	;; [unrolled: 1-line block ×3, first 2 shown]
	s_delay_alu instid0(VALU_DEP_3) | instskip(NEXT) | instid1(VALU_DEP_4)
	v_add_co_u32 v8, vcc_lo, v21, v8
	v_add_co_ci_u32_e32 v9, vcc_lo, 0, v9, vcc_lo
	s_delay_alu instid0(VALU_DEP_2) | instskip(NEXT) | instid1(VALU_DEP_2)
	v_add_co_u32 v8, vcc_lo, v8, v14
	v_add_co_ci_u32_e32 v8, vcc_lo, v9, v15, vcc_lo
	v_add_co_ci_u32_e32 v9, vcc_lo, 0, v17, vcc_lo
	s_delay_alu instid0(VALU_DEP_2) | instskip(NEXT) | instid1(VALU_DEP_2)
	v_add_co_u32 v11, vcc_lo, v8, v16
	v_add_co_ci_u32_e32 v14, vcc_lo, 0, v9, vcc_lo
	s_delay_alu instid0(VALU_DEP_2) | instskip(SKIP_1) | instid1(VALU_DEP_3)
	v_mul_lo_u32 v15, s7, v11
	v_mad_u64_u32 v[8:9], null, s6, v11, 0
	v_mul_lo_u32 v16, s6, v14
	s_delay_alu instid0(VALU_DEP_2) | instskip(NEXT) | instid1(VALU_DEP_2)
	v_sub_co_u32 v8, vcc_lo, v18, v8
	v_add3_u32 v9, v9, v16, v15
	s_delay_alu instid0(VALU_DEP_1) | instskip(NEXT) | instid1(VALU_DEP_1)
	v_sub_nc_u32_e32 v15, v20, v9
	v_subrev_co_ci_u32_e64 v15, s2, s7, v15, vcc_lo
	v_add_co_u32 v16, s2, v11, 2
	s_delay_alu instid0(VALU_DEP_1) | instskip(SKIP_3) | instid1(VALU_DEP_3)
	v_add_co_ci_u32_e64 v17, s2, 0, v14, s2
	v_sub_co_u32 v18, s2, v8, s6
	v_sub_co_ci_u32_e32 v9, vcc_lo, v20, v9, vcc_lo
	v_subrev_co_ci_u32_e64 v15, s2, 0, v15, s2
	v_cmp_le_u32_e32 vcc_lo, s6, v18
	s_delay_alu instid0(VALU_DEP_3) | instskip(SKIP_1) | instid1(VALU_DEP_4)
	v_cmp_eq_u32_e64 s2, s7, v9
	v_cndmask_b32_e64 v18, 0, -1, vcc_lo
	v_cmp_le_u32_e32 vcc_lo, s7, v15
	v_cndmask_b32_e64 v19, 0, -1, vcc_lo
	v_cmp_le_u32_e32 vcc_lo, s6, v8
	;; [unrolled: 2-line block ×3, first 2 shown]
	v_cndmask_b32_e64 v20, 0, -1, vcc_lo
	v_cmp_eq_u32_e32 vcc_lo, s7, v15
	s_delay_alu instid0(VALU_DEP_2) | instskip(SKIP_3) | instid1(VALU_DEP_3)
	v_cndmask_b32_e64 v8, v20, v8, s2
	v_cndmask_b32_e32 v15, v19, v18, vcc_lo
	v_add_co_u32 v18, vcc_lo, v11, 1
	v_add_co_ci_u32_e32 v19, vcc_lo, 0, v14, vcc_lo
	v_cmp_ne_u32_e32 vcc_lo, 0, v15
	s_delay_alu instid0(VALU_DEP_2) | instskip(NEXT) | instid1(VALU_DEP_4)
	v_cndmask_b32_e32 v9, v19, v17, vcc_lo
	v_cndmask_b32_e32 v15, v18, v16, vcc_lo
	v_cmp_ne_u32_e32 vcc_lo, 0, v8
	s_delay_alu instid0(VALU_DEP_2) | instskip(NEXT) | instid1(VALU_DEP_1)
	v_dual_cndmask_b32 v8, v14, v9 :: v_dual_cndmask_b32 v9, v11, v15
	v_xor_b32_e32 v11, v8, v10
	s_delay_alu instid0(VALU_DEP_2) | instskip(NEXT) | instid1(VALU_DEP_1)
	v_xor_b32_e32 v9, v9, v10
	v_sub_co_u32 v8, vcc_lo, v9, v10
	s_delay_alu instid0(VALU_DEP_3)
	v_sub_co_ci_u32_e32 v9, vcc_lo, v11, v10, vcc_lo
.LBB34_15:
	s_and_not1_saveexec_b32 s2, s11
	s_cbranch_execz .LBB34_17
; %bb.16:
	v_cvt_f32_u32_e32 v8, s10
	s_sub_i32 s4, 0, s10
	s_delay_alu instid0(VALU_DEP_1) | instskip(SKIP_2) | instid1(VALU_DEP_1)
	v_rcp_iflag_f32_e32 v8, v8
	s_waitcnt_depctr 0xfff
	v_mul_f32_e32 v8, 0x4f7ffffe, v8
	v_cvt_u32_f32_e32 v8, v8
	s_delay_alu instid0(VALU_DEP_1) | instskip(NEXT) | instid1(VALU_DEP_1)
	v_mul_lo_u32 v9, s4, v8
	v_mul_hi_u32 v9, v8, v9
	s_delay_alu instid0(VALU_DEP_1) | instskip(NEXT) | instid1(VALU_DEP_1)
	v_add_nc_u32_e32 v8, v8, v9
	v_mul_hi_u32 v8, v4, v8
	s_delay_alu instid0(VALU_DEP_1) | instskip(SKIP_1) | instid1(VALU_DEP_2)
	v_mul_lo_u32 v9, v8, s10
	v_add_nc_u32_e32 v10, 1, v8
	v_sub_nc_u32_e32 v9, v4, v9
	s_delay_alu instid0(VALU_DEP_1) | instskip(SKIP_1) | instid1(VALU_DEP_2)
	v_subrev_nc_u32_e32 v11, s10, v9
	v_cmp_le_u32_e32 vcc_lo, s10, v9
	v_dual_cndmask_b32 v9, v9, v11 :: v_dual_cndmask_b32 v8, v8, v10
	s_delay_alu instid0(VALU_DEP_1) | instskip(NEXT) | instid1(VALU_DEP_2)
	v_cmp_le_u32_e32 vcc_lo, s10, v9
	v_dual_mov_b32 v9, 0 :: v_dual_add_nc_u32 v10, 1, v8
	s_delay_alu instid0(VALU_DEP_1)
	v_cndmask_b32_e32 v8, v8, v10, vcc_lo
.LBB34_17:
	s_or_b32 exec_lo, exec_lo, s2
	s_delay_alu instid0(VALU_DEP_1) | instskip(NEXT) | instid1(VALU_DEP_2)
	v_mul_lo_u32 v14, s9, v8
	v_mul_lo_u32 v15, s10, v9
	v_mad_u64_u32 v[10:11], null, s10, v8, 0
	s_delay_alu instid0(VALU_DEP_1) | instskip(NEXT) | instid1(VALU_DEP_2)
	v_add3_u32 v11, v11, v15, v14
	v_sub_co_u32 v10, vcc_lo, v4, v10
	v_mov_b32_e32 v4, 0
	s_delay_alu instid0(VALU_DEP_3) | instskip(NEXT) | instid1(VALU_DEP_1)
	v_sub_co_ci_u32_e32 v11, vcc_lo, v5, v11, vcc_lo
	v_or_b32_e32 v5, s8, v11
	s_delay_alu instid0(VALU_DEP_1) | instskip(SKIP_1) | instid1(SALU_CYCLE_1)
	v_cmp_ne_u64_e32 vcc_lo, 0, v[4:5]
                                        ; implicit-def: $vgpr4_vgpr5
	s_and_saveexec_b32 s2, vcc_lo
	s_xor_b32 s9, exec_lo, s2
	s_cbranch_execz .LBB34_19
; %bb.18:
	s_ashr_i32 s4, s8, 31
	s_delay_alu instid0(SALU_CYCLE_1) | instskip(SKIP_2) | instid1(SALU_CYCLE_1)
	s_add_u32 s6, s3, s4
	s_mov_b32 s5, s4
	s_addc_u32 s7, s8, s4
	s_xor_b64 s[6:7], s[6:7], s[4:5]
	s_delay_alu instid0(SALU_CYCLE_1) | instskip(SKIP_3) | instid1(VALU_DEP_1)
	v_cvt_f32_u32_e32 v4, s6
	v_cvt_f32_u32_e32 v5, s7
	s_sub_u32 s2, 0, s6
	s_subb_u32 s5, 0, s7
	v_fmamk_f32 v4, v5, 0x4f800000, v4
	s_delay_alu instid0(VALU_DEP_1) | instskip(SKIP_2) | instid1(VALU_DEP_1)
	v_rcp_f32_e32 v4, v4
	s_waitcnt_depctr 0xfff
	v_mul_f32_e32 v4, 0x5f7ffffc, v4
	v_mul_f32_e32 v5, 0x2f800000, v4
	s_delay_alu instid0(VALU_DEP_1) | instskip(NEXT) | instid1(VALU_DEP_1)
	v_trunc_f32_e32 v5, v5
	v_fmamk_f32 v4, v5, 0xcf800000, v4
	v_cvt_u32_f32_e32 v5, v5
	s_delay_alu instid0(VALU_DEP_2) | instskip(NEXT) | instid1(VALU_DEP_2)
	v_cvt_u32_f32_e32 v4, v4
	v_mul_lo_u32 v14, s2, v5
	s_delay_alu instid0(VALU_DEP_2) | instskip(SKIP_1) | instid1(VALU_DEP_2)
	v_mul_hi_u32 v15, s2, v4
	v_mul_lo_u32 v16, s5, v4
	v_add_nc_u32_e32 v14, v15, v14
	v_mul_lo_u32 v15, s2, v4
	s_delay_alu instid0(VALU_DEP_2) | instskip(NEXT) | instid1(VALU_DEP_2)
	v_add_nc_u32_e32 v14, v14, v16
	v_mul_hi_u32 v16, v4, v15
	s_delay_alu instid0(VALU_DEP_2)
	v_mul_lo_u32 v17, v4, v14
	v_mul_hi_u32 v18, v4, v14
	v_mul_hi_u32 v19, v5, v15
	v_mul_lo_u32 v15, v5, v15
	v_mul_hi_u32 v20, v5, v14
	v_mul_lo_u32 v14, v5, v14
	v_add_co_u32 v16, vcc_lo, v16, v17
	v_add_co_ci_u32_e32 v17, vcc_lo, 0, v18, vcc_lo
	s_delay_alu instid0(VALU_DEP_2) | instskip(NEXT) | instid1(VALU_DEP_2)
	v_add_co_u32 v15, vcc_lo, v16, v15
	v_add_co_ci_u32_e32 v15, vcc_lo, v17, v19, vcc_lo
	v_add_co_ci_u32_e32 v16, vcc_lo, 0, v20, vcc_lo
	v_ashrrev_i32_e32 v19, 31, v11
	s_delay_alu instid0(VALU_DEP_3) | instskip(NEXT) | instid1(VALU_DEP_3)
	v_add_co_u32 v14, vcc_lo, v15, v14
	v_add_co_ci_u32_e32 v15, vcc_lo, 0, v16, vcc_lo
	s_delay_alu instid0(VALU_DEP_2) | instskip(NEXT) | instid1(VALU_DEP_2)
	v_add_co_u32 v4, vcc_lo, v4, v14
	v_add_co_ci_u32_e32 v5, vcc_lo, v5, v15, vcc_lo
	s_delay_alu instid0(VALU_DEP_2) | instskip(SKIP_1) | instid1(VALU_DEP_3)
	v_mul_hi_u32 v14, s2, v4
	v_mul_lo_u32 v16, s5, v4
	v_mul_lo_u32 v15, s2, v5
	s_delay_alu instid0(VALU_DEP_1) | instskip(SKIP_1) | instid1(VALU_DEP_2)
	v_add_nc_u32_e32 v14, v14, v15
	v_mul_lo_u32 v15, s2, v4
	v_add_nc_u32_e32 v14, v14, v16
	s_delay_alu instid0(VALU_DEP_2) | instskip(NEXT) | instid1(VALU_DEP_2)
	v_mul_hi_u32 v16, v4, v15
	v_mul_lo_u32 v17, v4, v14
	v_mul_hi_u32 v18, v4, v14
	v_mul_hi_u32 v20, v5, v15
	v_mul_lo_u32 v15, v5, v15
	v_mul_hi_u32 v21, v5, v14
	v_mul_lo_u32 v14, v5, v14
	v_add_co_u32 v16, vcc_lo, v16, v17
	v_add_co_ci_u32_e32 v17, vcc_lo, 0, v18, vcc_lo
	s_delay_alu instid0(VALU_DEP_2) | instskip(NEXT) | instid1(VALU_DEP_2)
	v_add_co_u32 v15, vcc_lo, v16, v15
	v_add_co_ci_u32_e32 v15, vcc_lo, v17, v20, vcc_lo
	v_add_co_ci_u32_e32 v16, vcc_lo, 0, v21, vcc_lo
	v_add_co_u32 v17, vcc_lo, v10, v19
	v_add_co_ci_u32_e32 v18, vcc_lo, v11, v19, vcc_lo
	s_delay_alu instid0(VALU_DEP_4) | instskip(NEXT) | instid1(VALU_DEP_4)
	v_add_co_u32 v14, vcc_lo, v15, v14
	v_add_co_ci_u32_e32 v15, vcc_lo, 0, v16, vcc_lo
	s_delay_alu instid0(VALU_DEP_4) | instskip(NEXT) | instid1(VALU_DEP_3)
	v_xor_b32_e32 v20, v17, v19
	v_add_co_u32 v16, vcc_lo, v4, v14
	s_delay_alu instid0(VALU_DEP_3) | instskip(SKIP_1) | instid1(VALU_DEP_3)
	v_add_co_ci_u32_e32 v21, vcc_lo, v5, v15, vcc_lo
	v_xor_b32_e32 v18, v18, v19
	v_mul_hi_u32 v22, v20, v16
	s_delay_alu instid0(VALU_DEP_3) | instskip(NEXT) | instid1(VALU_DEP_3)
	v_mad_u64_u32 v[4:5], null, v20, v21, 0
	v_mad_u64_u32 v[14:15], null, v18, v16, 0
	;; [unrolled: 1-line block ×3, first 2 shown]
	s_delay_alu instid0(VALU_DEP_3) | instskip(NEXT) | instid1(VALU_DEP_4)
	v_add_co_u32 v4, vcc_lo, v22, v4
	v_add_co_ci_u32_e32 v5, vcc_lo, 0, v5, vcc_lo
	s_delay_alu instid0(VALU_DEP_2) | instskip(NEXT) | instid1(VALU_DEP_2)
	v_add_co_u32 v4, vcc_lo, v4, v14
	v_add_co_ci_u32_e32 v4, vcc_lo, v5, v15, vcc_lo
	v_add_co_ci_u32_e32 v5, vcc_lo, 0, v17, vcc_lo
	s_delay_alu instid0(VALU_DEP_2) | instskip(NEXT) | instid1(VALU_DEP_2)
	v_add_co_u32 v14, vcc_lo, v4, v16
	v_add_co_ci_u32_e32 v15, vcc_lo, 0, v5, vcc_lo
	s_delay_alu instid0(VALU_DEP_2) | instskip(SKIP_1) | instid1(VALU_DEP_3)
	v_mul_lo_u32 v16, s7, v14
	v_mad_u64_u32 v[4:5], null, s6, v14, 0
	v_mul_lo_u32 v17, s6, v15
	s_delay_alu instid0(VALU_DEP_2) | instskip(NEXT) | instid1(VALU_DEP_2)
	v_sub_co_u32 v4, vcc_lo, v20, v4
	v_add3_u32 v5, v5, v17, v16
	s_delay_alu instid0(VALU_DEP_1) | instskip(NEXT) | instid1(VALU_DEP_1)
	v_sub_nc_u32_e32 v16, v18, v5
	v_subrev_co_ci_u32_e64 v16, s2, s7, v16, vcc_lo
	v_add_co_u32 v17, s2, v14, 2
	s_delay_alu instid0(VALU_DEP_1) | instskip(SKIP_3) | instid1(VALU_DEP_3)
	v_add_co_ci_u32_e64 v20, s2, 0, v15, s2
	v_sub_co_u32 v21, s2, v4, s6
	v_sub_co_ci_u32_e32 v5, vcc_lo, v18, v5, vcc_lo
	v_subrev_co_ci_u32_e64 v16, s2, 0, v16, s2
	v_cmp_le_u32_e32 vcc_lo, s6, v21
	s_delay_alu instid0(VALU_DEP_3) | instskip(SKIP_1) | instid1(VALU_DEP_4)
	v_cmp_eq_u32_e64 s2, s7, v5
	v_cndmask_b32_e64 v18, 0, -1, vcc_lo
	v_cmp_le_u32_e32 vcc_lo, s7, v16
	v_cndmask_b32_e64 v21, 0, -1, vcc_lo
	v_cmp_le_u32_e32 vcc_lo, s6, v4
	;; [unrolled: 2-line block ×3, first 2 shown]
	v_cndmask_b32_e64 v22, 0, -1, vcc_lo
	v_cmp_eq_u32_e32 vcc_lo, s7, v16
	s_delay_alu instid0(VALU_DEP_2) | instskip(SKIP_3) | instid1(VALU_DEP_3)
	v_cndmask_b32_e64 v4, v22, v4, s2
	v_cndmask_b32_e32 v16, v21, v18, vcc_lo
	v_add_co_u32 v18, vcc_lo, v14, 1
	v_add_co_ci_u32_e32 v21, vcc_lo, 0, v15, vcc_lo
	v_cmp_ne_u32_e32 vcc_lo, 0, v16
	s_delay_alu instid0(VALU_DEP_2) | instskip(SKIP_2) | instid1(VALU_DEP_3)
	v_dual_cndmask_b32 v5, v21, v20 :: v_dual_cndmask_b32 v16, v18, v17
	v_cmp_ne_u32_e32 vcc_lo, 0, v4
	v_xor_b32_e32 v17, s4, v19
	v_dual_cndmask_b32 v4, v15, v5 :: v_dual_cndmask_b32 v5, v14, v16
	s_delay_alu instid0(VALU_DEP_1) | instskip(NEXT) | instid1(VALU_DEP_2)
	v_xor_b32_e32 v14, v4, v17
	v_xor_b32_e32 v5, v5, v17
	s_delay_alu instid0(VALU_DEP_1) | instskip(NEXT) | instid1(VALU_DEP_3)
	v_sub_co_u32 v4, vcc_lo, v5, v17
	v_sub_co_ci_u32_e32 v5, vcc_lo, v14, v17, vcc_lo
.LBB34_19:
	s_and_not1_saveexec_b32 s2, s9
	s_cbranch_execz .LBB34_21
; %bb.20:
	v_cvt_f32_u32_e32 v4, s3
	s_sub_i32 s4, 0, s3
	s_delay_alu instid0(VALU_DEP_1) | instskip(SKIP_2) | instid1(VALU_DEP_1)
	v_rcp_iflag_f32_e32 v4, v4
	s_waitcnt_depctr 0xfff
	v_mul_f32_e32 v4, 0x4f7ffffe, v4
	v_cvt_u32_f32_e32 v4, v4
	s_delay_alu instid0(VALU_DEP_1) | instskip(NEXT) | instid1(VALU_DEP_1)
	v_mul_lo_u32 v5, s4, v4
	v_mul_hi_u32 v5, v4, v5
	s_delay_alu instid0(VALU_DEP_1) | instskip(NEXT) | instid1(VALU_DEP_1)
	v_add_nc_u32_e32 v4, v4, v5
	v_mul_hi_u32 v4, v10, v4
	s_delay_alu instid0(VALU_DEP_1) | instskip(SKIP_1) | instid1(VALU_DEP_2)
	v_mul_lo_u32 v5, v4, s3
	v_add_nc_u32_e32 v14, 1, v4
	v_sub_nc_u32_e32 v5, v10, v5
	s_delay_alu instid0(VALU_DEP_1) | instskip(SKIP_1) | instid1(VALU_DEP_2)
	v_subrev_nc_u32_e32 v15, s3, v5
	v_cmp_le_u32_e32 vcc_lo, s3, v5
	v_dual_cndmask_b32 v5, v5, v15 :: v_dual_cndmask_b32 v4, v4, v14
	s_delay_alu instid0(VALU_DEP_1) | instskip(NEXT) | instid1(VALU_DEP_2)
	v_cmp_le_u32_e32 vcc_lo, s3, v5
	v_dual_mov_b32 v5, 0 :: v_dual_add_nc_u32 v14, 1, v4
	s_delay_alu instid0(VALU_DEP_1)
	v_cndmask_b32_e32 v4, v4, v14, vcc_lo
.LBB34_21:
	s_or_b32 exec_lo, exec_lo, s2
	s_delay_alu instid0(VALU_DEP_1) | instskip(NEXT) | instid1(VALU_DEP_2)
	v_mul_lo_u32 v16, s8, v4
	v_mul_lo_u32 v17, s3, v5
	v_mad_u64_u32 v[14:15], null, s3, v4, 0
	s_delay_alu instid0(VALU_DEP_1) | instskip(NEXT) | instid1(VALU_DEP_2)
	v_add3_u32 v15, v15, v17, v16
	v_sub_co_u32 v14, vcc_lo, v10, v14
	v_mov_b32_e32 v10, 0
	s_delay_alu instid0(VALU_DEP_3) | instskip(NEXT) | instid1(VALU_DEP_1)
	v_sub_co_ci_u32_e32 v15, vcc_lo, v11, v15, vcc_lo
	v_or_b32_e32 v11, s41, v15
	s_delay_alu instid0(VALU_DEP_1) | instskip(SKIP_1) | instid1(SALU_CYCLE_1)
	v_cmp_ne_u64_e32 vcc_lo, 0, v[10:11]
                                        ; implicit-def: $vgpr10_vgpr11
	s_and_saveexec_b32 s2, vcc_lo
	s_xor_b32 s3, exec_lo, s2
	s_cbranch_execz .LBB34_23
; %bb.22:
	s_ashr_i32 s4, s41, 31
	s_delay_alu instid0(SALU_CYCLE_1) | instskip(SKIP_2) | instid1(SALU_CYCLE_1)
	s_add_u32 s6, s40, s4
	s_mov_b32 s5, s4
	s_addc_u32 s7, s41, s4
	s_xor_b64 s[6:7], s[6:7], s[4:5]
	s_delay_alu instid0(SALU_CYCLE_1) | instskip(SKIP_3) | instid1(VALU_DEP_1)
	v_cvt_f32_u32_e32 v10, s6
	v_cvt_f32_u32_e32 v11, s7
	s_sub_u32 s2, 0, s6
	s_subb_u32 s5, 0, s7
	v_fmamk_f32 v10, v11, 0x4f800000, v10
	s_delay_alu instid0(VALU_DEP_1) | instskip(SKIP_2) | instid1(VALU_DEP_1)
	v_rcp_f32_e32 v10, v10
	s_waitcnt_depctr 0xfff
	v_mul_f32_e32 v10, 0x5f7ffffc, v10
	v_mul_f32_e32 v11, 0x2f800000, v10
	s_delay_alu instid0(VALU_DEP_1) | instskip(NEXT) | instid1(VALU_DEP_1)
	v_trunc_f32_e32 v11, v11
	v_fmamk_f32 v10, v11, 0xcf800000, v10
	v_cvt_u32_f32_e32 v11, v11
	s_delay_alu instid0(VALU_DEP_2) | instskip(NEXT) | instid1(VALU_DEP_2)
	v_cvt_u32_f32_e32 v10, v10
	v_mul_lo_u32 v16, s2, v11
	s_delay_alu instid0(VALU_DEP_2) | instskip(SKIP_1) | instid1(VALU_DEP_2)
	v_mul_hi_u32 v17, s2, v10
	v_mul_lo_u32 v18, s5, v10
	v_add_nc_u32_e32 v16, v17, v16
	v_mul_lo_u32 v17, s2, v10
	s_delay_alu instid0(VALU_DEP_2) | instskip(NEXT) | instid1(VALU_DEP_2)
	v_add_nc_u32_e32 v16, v16, v18
	v_mul_hi_u32 v18, v10, v17
	s_delay_alu instid0(VALU_DEP_2)
	v_mul_lo_u32 v19, v10, v16
	v_mul_hi_u32 v20, v10, v16
	v_mul_hi_u32 v21, v11, v17
	v_mul_lo_u32 v17, v11, v17
	v_mul_hi_u32 v22, v11, v16
	v_mul_lo_u32 v16, v11, v16
	v_add_co_u32 v18, vcc_lo, v18, v19
	v_add_co_ci_u32_e32 v19, vcc_lo, 0, v20, vcc_lo
	s_delay_alu instid0(VALU_DEP_2) | instskip(NEXT) | instid1(VALU_DEP_2)
	v_add_co_u32 v17, vcc_lo, v18, v17
	v_add_co_ci_u32_e32 v17, vcc_lo, v19, v21, vcc_lo
	v_add_co_ci_u32_e32 v18, vcc_lo, 0, v22, vcc_lo
	v_ashrrev_i32_e32 v21, 31, v15
	s_delay_alu instid0(VALU_DEP_3) | instskip(NEXT) | instid1(VALU_DEP_3)
	v_add_co_u32 v16, vcc_lo, v17, v16
	v_add_co_ci_u32_e32 v17, vcc_lo, 0, v18, vcc_lo
	s_delay_alu instid0(VALU_DEP_2) | instskip(NEXT) | instid1(VALU_DEP_2)
	v_add_co_u32 v10, vcc_lo, v10, v16
	v_add_co_ci_u32_e32 v11, vcc_lo, v11, v17, vcc_lo
	s_delay_alu instid0(VALU_DEP_2) | instskip(SKIP_1) | instid1(VALU_DEP_3)
	v_mul_hi_u32 v16, s2, v10
	v_mul_lo_u32 v18, s5, v10
	v_mul_lo_u32 v17, s2, v11
	s_delay_alu instid0(VALU_DEP_1) | instskip(SKIP_1) | instid1(VALU_DEP_2)
	v_add_nc_u32_e32 v16, v16, v17
	v_mul_lo_u32 v17, s2, v10
	v_add_nc_u32_e32 v16, v16, v18
	s_delay_alu instid0(VALU_DEP_2) | instskip(NEXT) | instid1(VALU_DEP_2)
	v_mul_hi_u32 v18, v10, v17
	v_mul_lo_u32 v19, v10, v16
	v_mul_hi_u32 v20, v10, v16
	v_mul_hi_u32 v22, v11, v17
	v_mul_lo_u32 v17, v11, v17
	v_mul_hi_u32 v23, v11, v16
	v_mul_lo_u32 v16, v11, v16
	v_add_co_u32 v18, vcc_lo, v18, v19
	v_add_co_ci_u32_e32 v19, vcc_lo, 0, v20, vcc_lo
	s_delay_alu instid0(VALU_DEP_2) | instskip(NEXT) | instid1(VALU_DEP_2)
	v_add_co_u32 v17, vcc_lo, v18, v17
	v_add_co_ci_u32_e32 v17, vcc_lo, v19, v22, vcc_lo
	v_add_co_ci_u32_e32 v18, vcc_lo, 0, v23, vcc_lo
	v_add_co_u32 v19, vcc_lo, v14, v21
	v_add_co_ci_u32_e32 v20, vcc_lo, v15, v21, vcc_lo
	s_delay_alu instid0(VALU_DEP_4) | instskip(NEXT) | instid1(VALU_DEP_4)
	v_add_co_u32 v16, vcc_lo, v17, v16
	v_add_co_ci_u32_e32 v17, vcc_lo, 0, v18, vcc_lo
	s_delay_alu instid0(VALU_DEP_4) | instskip(NEXT) | instid1(VALU_DEP_3)
	v_xor_b32_e32 v22, v19, v21
	v_add_co_u32 v18, vcc_lo, v10, v16
	s_delay_alu instid0(VALU_DEP_3) | instskip(SKIP_1) | instid1(VALU_DEP_3)
	v_add_co_ci_u32_e32 v23, vcc_lo, v11, v17, vcc_lo
	v_xor_b32_e32 v20, v20, v21
	v_mul_hi_u32 v24, v22, v18
	s_delay_alu instid0(VALU_DEP_3) | instskip(NEXT) | instid1(VALU_DEP_3)
	v_mad_u64_u32 v[10:11], null, v22, v23, 0
	v_mad_u64_u32 v[16:17], null, v20, v18, 0
	;; [unrolled: 1-line block ×3, first 2 shown]
	s_delay_alu instid0(VALU_DEP_3) | instskip(NEXT) | instid1(VALU_DEP_4)
	v_add_co_u32 v10, vcc_lo, v24, v10
	v_add_co_ci_u32_e32 v11, vcc_lo, 0, v11, vcc_lo
	s_delay_alu instid0(VALU_DEP_2) | instskip(NEXT) | instid1(VALU_DEP_2)
	v_add_co_u32 v10, vcc_lo, v10, v16
	v_add_co_ci_u32_e32 v10, vcc_lo, v11, v17, vcc_lo
	v_add_co_ci_u32_e32 v11, vcc_lo, 0, v19, vcc_lo
	s_delay_alu instid0(VALU_DEP_2) | instskip(NEXT) | instid1(VALU_DEP_2)
	v_add_co_u32 v16, vcc_lo, v10, v18
	v_add_co_ci_u32_e32 v17, vcc_lo, 0, v11, vcc_lo
	s_delay_alu instid0(VALU_DEP_2) | instskip(SKIP_1) | instid1(VALU_DEP_3)
	v_mul_lo_u32 v18, s7, v16
	v_mad_u64_u32 v[10:11], null, s6, v16, 0
	v_mul_lo_u32 v19, s6, v17
	s_delay_alu instid0(VALU_DEP_2) | instskip(NEXT) | instid1(VALU_DEP_2)
	v_sub_co_u32 v10, vcc_lo, v22, v10
	v_add3_u32 v11, v11, v19, v18
	s_delay_alu instid0(VALU_DEP_1) | instskip(NEXT) | instid1(VALU_DEP_1)
	v_sub_nc_u32_e32 v18, v20, v11
	v_subrev_co_ci_u32_e64 v18, s2, s7, v18, vcc_lo
	v_add_co_u32 v19, s2, v16, 2
	s_delay_alu instid0(VALU_DEP_1) | instskip(SKIP_3) | instid1(VALU_DEP_3)
	v_add_co_ci_u32_e64 v22, s2, 0, v17, s2
	v_sub_co_u32 v23, s2, v10, s6
	v_sub_co_ci_u32_e32 v11, vcc_lo, v20, v11, vcc_lo
	v_subrev_co_ci_u32_e64 v18, s2, 0, v18, s2
	v_cmp_le_u32_e32 vcc_lo, s6, v23
	s_delay_alu instid0(VALU_DEP_3) | instskip(SKIP_1) | instid1(VALU_DEP_4)
	v_cmp_eq_u32_e64 s2, s7, v11
	v_cndmask_b32_e64 v20, 0, -1, vcc_lo
	v_cmp_le_u32_e32 vcc_lo, s7, v18
	v_cndmask_b32_e64 v23, 0, -1, vcc_lo
	v_cmp_le_u32_e32 vcc_lo, s6, v10
	;; [unrolled: 2-line block ×3, first 2 shown]
	v_cndmask_b32_e64 v24, 0, -1, vcc_lo
	v_cmp_eq_u32_e32 vcc_lo, s7, v18
	s_delay_alu instid0(VALU_DEP_2) | instskip(SKIP_3) | instid1(VALU_DEP_3)
	v_cndmask_b32_e64 v10, v24, v10, s2
	v_cndmask_b32_e32 v18, v23, v20, vcc_lo
	v_add_co_u32 v20, vcc_lo, v16, 1
	v_add_co_ci_u32_e32 v23, vcc_lo, 0, v17, vcc_lo
	v_cmp_ne_u32_e32 vcc_lo, 0, v18
	s_delay_alu instid0(VALU_DEP_2) | instskip(SKIP_2) | instid1(VALU_DEP_3)
	v_dual_cndmask_b32 v11, v23, v22 :: v_dual_cndmask_b32 v18, v20, v19
	v_cmp_ne_u32_e32 vcc_lo, 0, v10
	v_xor_b32_e32 v19, s4, v21
	v_dual_cndmask_b32 v10, v17, v11 :: v_dual_cndmask_b32 v11, v16, v18
	s_delay_alu instid0(VALU_DEP_1) | instskip(NEXT) | instid1(VALU_DEP_2)
	v_xor_b32_e32 v16, v10, v19
	v_xor_b32_e32 v11, v11, v19
	s_delay_alu instid0(VALU_DEP_1) | instskip(NEXT) | instid1(VALU_DEP_3)
	v_sub_co_u32 v10, vcc_lo, v11, v19
	v_sub_co_ci_u32_e32 v11, vcc_lo, v16, v19, vcc_lo
.LBB34_23:
	s_and_not1_saveexec_b32 s2, s3
	s_cbranch_execz .LBB34_25
; %bb.24:
	v_cvt_f32_u32_e32 v10, s40
	s_sub_i32 s3, 0, s40
	s_delay_alu instid0(VALU_DEP_1) | instskip(SKIP_2) | instid1(VALU_DEP_1)
	v_rcp_iflag_f32_e32 v10, v10
	s_waitcnt_depctr 0xfff
	v_mul_f32_e32 v10, 0x4f7ffffe, v10
	v_cvt_u32_f32_e32 v10, v10
	s_delay_alu instid0(VALU_DEP_1) | instskip(NEXT) | instid1(VALU_DEP_1)
	v_mul_lo_u32 v11, s3, v10
	v_mul_hi_u32 v11, v10, v11
	s_delay_alu instid0(VALU_DEP_1) | instskip(NEXT) | instid1(VALU_DEP_1)
	v_add_nc_u32_e32 v10, v10, v11
	v_mul_hi_u32 v10, v14, v10
	s_delay_alu instid0(VALU_DEP_1) | instskip(SKIP_1) | instid1(VALU_DEP_2)
	v_mul_lo_u32 v11, v10, s40
	v_add_nc_u32_e32 v16, 1, v10
	v_sub_nc_u32_e32 v11, v14, v11
	s_delay_alu instid0(VALU_DEP_1) | instskip(SKIP_1) | instid1(VALU_DEP_2)
	v_subrev_nc_u32_e32 v17, s40, v11
	v_cmp_le_u32_e32 vcc_lo, s40, v11
	v_dual_cndmask_b32 v11, v11, v17 :: v_dual_cndmask_b32 v10, v10, v16
	s_delay_alu instid0(VALU_DEP_1) | instskip(NEXT) | instid1(VALU_DEP_2)
	v_cmp_le_u32_e32 vcc_lo, s40, v11
	v_dual_mov_b32 v11, 0 :: v_dual_add_nc_u32 v16, 1, v10
	s_delay_alu instid0(VALU_DEP_1)
	v_cndmask_b32_e32 v10, v10, v16, vcc_lo
.LBB34_25:
	s_or_b32 exec_lo, exec_lo, s2
	v_mul_lo_u32 v18, v7, s22
	v_mul_lo_u32 v19, v6, s23
	v_mad_u64_u32 v[16:17], null, v6, s22, 0
	v_mul_lo_u32 v7, v7, s30
	v_mul_lo_u32 v3, v3, s36
	s_load_b64 s[0:1], s[0:1], 0x80
	s_delay_alu instid0(VALU_DEP_3) | instskip(NEXT) | instid1(VALU_DEP_4)
	v_add3_u32 v17, v17, v19, v18
	v_sub_co_u32 v16, vcc_lo, v12, v16
	s_delay_alu instid0(VALU_DEP_2) | instskip(NEXT) | instid1(VALU_DEP_2)
	v_sub_co_ci_u32_e32 v17, vcc_lo, v13, v17, vcc_lo
	v_mul_lo_u32 v18, v16, s29
	v_mad_u64_u32 v[12:13], null, v16, s28, s[16:17]
	s_delay_alu instid0(VALU_DEP_3) | instskip(NEXT) | instid1(VALU_DEP_1)
	v_mul_lo_u32 v16, v17, s28
	v_add3_u32 v13, v16, v13, v18
	v_mul_lo_u32 v18, v6, s31
	s_delay_alu instid0(VALU_DEP_2) | instskip(SKIP_1) | instid1(VALU_DEP_2)
	v_mad_u64_u32 v[16:17], null, v6, s30, v[12:13]
	v_mul_lo_u32 v12, v2, s37
	v_add3_u32 v17, v7, v17, v18
	s_delay_alu instid0(VALU_DEP_1) | instskip(NEXT) | instid1(VALU_DEP_1)
	v_mad_u64_u32 v[6:7], null, v2, s36, v[16:17]
	v_add3_u32 v7, v3, v7, v12
	v_mul_lo_u32 v12, v0, s39
	s_delay_alu instid0(VALU_DEP_2) | instskip(SKIP_1) | instid1(VALU_DEP_1)
	v_mad_u64_u32 v[2:3], null, v0, s38, v[6:7]
	v_mul_lo_u32 v0, v1, s38
	v_add3_u32 v3, v0, v3, v12
	v_mad_u64_u32 v[0:1], null, v10, s40, 0
	global_load_b32 v6, v[2:3], off
	v_mul_lo_u32 v2, v11, s40
	v_mul_lo_u32 v3, v10, s41
	s_delay_alu instid0(VALU_DEP_1) | instskip(SKIP_1) | instid1(VALU_DEP_2)
	v_add3_u32 v1, v1, v3, v2
	v_sub_co_u32 v2, vcc_lo, v14, v0
	v_sub_co_ci_u32_e32 v0, vcc_lo, v15, v1, vcc_lo
	s_delay_alu instid0(VALU_DEP_2) | instskip(NEXT) | instid1(VALU_DEP_2)
	v_mul_lo_u32 v3, v2, s47
	v_mul_lo_u32 v7, v0, s46
	v_mad_u64_u32 v[0:1], null, v2, s46, s[18:19]
	s_delay_alu instid0(VALU_DEP_1) | instskip(NEXT) | instid1(VALU_DEP_1)
	v_add3_u32 v1, v7, v1, v3
	v_mad_u64_u32 v[2:3], null, v10, s48, v[0:1]
	v_mul_lo_u32 v0, v10, s49
	v_mul_lo_u32 v1, v11, s48
	s_delay_alu instid0(VALU_DEP_1) | instskip(NEXT) | instid1(VALU_DEP_1)
	v_add3_u32 v3, v1, v3, v0
	v_mad_u64_u32 v[0:1], null, v4, s50, v[2:3]
	v_mul_lo_u32 v2, v4, s51
	v_mul_lo_u32 v3, v5, s50
	s_delay_alu instid0(VALU_DEP_1) | instskip(SKIP_1) | instid1(VALU_DEP_1)
	v_add3_u32 v1, v3, v1, v2
	s_waitcnt lgkmcnt(0)
	v_mad_u64_u32 v[2:3], null, v8, s0, v[0:1]
	v_mul_lo_u32 v0, v8, s1
	v_mul_lo_u32 v1, v9, s0
	s_delay_alu instid0(VALU_DEP_1)
	v_add3_u32 v3, v1, v3, v0
	s_waitcnt vmcnt(0)
	v_cvt_f32_i32_e32 v0, v6
	global_store_b32 v[2:3], v0, off
.LBB34_26:
	s_nop 0
	s_sendmsg sendmsg(MSG_DEALLOC_VGPRS)
	s_endpgm
	.section	.rodata,"a",@progbits
	.p2align	6, 0x0
	.amdhsa_kernel _ZL10cpy_scalarIXadL_ZL12cpy_1_scalarIifEvPKcPcEEEvS2_S3_lllllllllllllll
		.amdhsa_group_segment_fixed_size 0
		.amdhsa_private_segment_fixed_size 0
		.amdhsa_kernarg_size 392
		.amdhsa_user_sgpr_count 15
		.amdhsa_user_sgpr_dispatch_ptr 0
		.amdhsa_user_sgpr_queue_ptr 0
		.amdhsa_user_sgpr_kernarg_segment_ptr 1
		.amdhsa_user_sgpr_dispatch_id 0
		.amdhsa_user_sgpr_private_segment_size 0
		.amdhsa_wavefront_size32 1
		.amdhsa_uses_dynamic_stack 0
		.amdhsa_enable_private_segment 0
		.amdhsa_system_sgpr_workgroup_id_x 1
		.amdhsa_system_sgpr_workgroup_id_y 0
		.amdhsa_system_sgpr_workgroup_id_z 0
		.amdhsa_system_sgpr_workgroup_info 0
		.amdhsa_system_vgpr_workitem_id 0
		.amdhsa_next_free_vgpr 25
		.amdhsa_next_free_sgpr 52
		.amdhsa_reserve_vcc 1
		.amdhsa_float_round_mode_32 0
		.amdhsa_float_round_mode_16_64 0
		.amdhsa_float_denorm_mode_32 3
		.amdhsa_float_denorm_mode_16_64 3
		.amdhsa_dx10_clamp 1
		.amdhsa_ieee_mode 1
		.amdhsa_fp16_overflow 0
		.amdhsa_workgroup_processor_mode 1
		.amdhsa_memory_ordered 1
		.amdhsa_forward_progress 0
		.amdhsa_shared_vgpr_count 0
		.amdhsa_exception_fp_ieee_invalid_op 0
		.amdhsa_exception_fp_denorm_src 0
		.amdhsa_exception_fp_ieee_div_zero 0
		.amdhsa_exception_fp_ieee_overflow 0
		.amdhsa_exception_fp_ieee_underflow 0
		.amdhsa_exception_fp_ieee_inexact 0
		.amdhsa_exception_int_div_zero 0
	.end_amdhsa_kernel
	.section	.text._ZL10cpy_scalarIXadL_ZL12cpy_1_scalarIifEvPKcPcEEEvS2_S3_lllllllllllllll,"axG",@progbits,_ZL10cpy_scalarIXadL_ZL12cpy_1_scalarIifEvPKcPcEEEvS2_S3_lllllllllllllll,comdat
.Lfunc_end34:
	.size	_ZL10cpy_scalarIXadL_ZL12cpy_1_scalarIifEvPKcPcEEEvS2_S3_lllllllllllllll, .Lfunc_end34-_ZL10cpy_scalarIXadL_ZL12cpy_1_scalarIifEvPKcPcEEEvS2_S3_lllllllllllllll
                                        ; -- End function
	.section	.AMDGPU.csdata,"",@progbits
; Kernel info:
; codeLenInByte = 6832
; NumSgprs: 54
; NumVgprs: 25
; ScratchSize: 0
; MemoryBound: 0
; FloatMode: 240
; IeeeMode: 1
; LDSByteSize: 0 bytes/workgroup (compile time only)
; SGPRBlocks: 6
; VGPRBlocks: 3
; NumSGPRsForWavesPerEU: 54
; NumVGPRsForWavesPerEU: 25
; Occupancy: 16
; WaveLimiterHint : 0
; COMPUTE_PGM_RSRC2:SCRATCH_EN: 0
; COMPUTE_PGM_RSRC2:USER_SGPR: 15
; COMPUTE_PGM_RSRC2:TRAP_HANDLER: 0
; COMPUTE_PGM_RSRC2:TGID_X_EN: 1
; COMPUTE_PGM_RSRC2:TGID_Y_EN: 0
; COMPUTE_PGM_RSRC2:TGID_Z_EN: 0
; COMPUTE_PGM_RSRC2:TIDIG_COMP_CNT: 0
	.text
	.p2alignl 7, 3214868480
	.fill 96, 4, 3214868480
	.type	_ZL13kvalues_iq4nl,@object      ; @_ZL13kvalues_iq4nl
	.section	.rodata.cst16,"aM",@progbits,16
	.p2align	4, 0x0
_ZL13kvalues_iq4nl:
	.ascii	"\201\230\255\277\317\335\352\366\001\r\031&5EYq"
	.size	_ZL13kvalues_iq4nl, 16

	.type	__hip_cuid_10a870588dd380eb,@object ; @__hip_cuid_10a870588dd380eb
	.section	.bss,"aw",@nobits
	.globl	__hip_cuid_10a870588dd380eb
__hip_cuid_10a870588dd380eb:
	.byte	0                               ; 0x0
	.size	__hip_cuid_10a870588dd380eb, 1

	.ident	"AMD clang version 19.0.0git (https://github.com/RadeonOpenCompute/llvm-project roc-6.4.0 25133 c7fe45cf4b819c5991fe208aaa96edf142730f1d)"
	.section	".note.GNU-stack","",@progbits
	.addrsig
	.addrsig_sym __hip_cuid_10a870588dd380eb
	.amdgpu_metadata
---
amdhsa.kernels:
  - .args:
      - .address_space:  global
        .offset:         0
        .size:           8
        .value_kind:     global_buffer
      - .address_space:  global
        .offset:         8
        .size:           8
        .value_kind:     global_buffer
      - .offset:         16
        .size:           8
        .value_kind:     by_value
      - .offset:         24
        .size:           8
        .value_kind:     by_value
      - .offset:         32
        .size:           8
        .value_kind:     by_value
      - .offset:         40
        .size:           8
        .value_kind:     by_value
      - .offset:         48
        .size:           8
        .value_kind:     by_value
      - .offset:         56
        .size:           8
        .value_kind:     by_value
      - .offset:         64
        .size:           8
        .value_kind:     by_value
      - .offset:         72
        .size:           8
        .value_kind:     by_value
      - .offset:         80
        .size:           8
        .value_kind:     by_value
      - .offset:         88
        .size:           8
        .value_kind:     by_value
      - .offset:         96
        .size:           8
        .value_kind:     by_value
      - .offset:         104
        .size:           8
        .value_kind:     by_value
      - .offset:         112
        .size:           8
        .value_kind:     by_value
      - .offset:         120
        .size:           8
        .value_kind:     by_value
      - .offset:         128
        .size:           8
        .value_kind:     by_value
      - .offset:         136
        .size:           4
        .value_kind:     hidden_block_count_x
      - .offset:         140
        .size:           4
        .value_kind:     hidden_block_count_y
      - .offset:         144
        .size:           4
        .value_kind:     hidden_block_count_z
      - .offset:         148
        .size:           2
        .value_kind:     hidden_group_size_x
      - .offset:         150
        .size:           2
        .value_kind:     hidden_group_size_y
      - .offset:         152
        .size:           2
        .value_kind:     hidden_group_size_z
      - .offset:         154
        .size:           2
        .value_kind:     hidden_remainder_x
      - .offset:         156
        .size:           2
        .value_kind:     hidden_remainder_y
      - .offset:         158
        .size:           2
        .value_kind:     hidden_remainder_z
      - .offset:         176
        .size:           8
        .value_kind:     hidden_global_offset_x
      - .offset:         184
        .size:           8
        .value_kind:     hidden_global_offset_y
      - .offset:         192
        .size:           8
        .value_kind:     hidden_global_offset_z
      - .offset:         200
        .size:           2
        .value_kind:     hidden_grid_dims
    .group_segment_fixed_size: 0
    .kernarg_segment_align: 8
    .kernarg_segment_size: 392
    .language:       OpenCL C
    .language_version:
      - 2
      - 0
    .max_flat_workgroup_size: 1024
    .name:           _ZL9cpy_f32_qIXadL_ZL17cpy_blck_f32_q8_0PKcPcEELi32EEvS1_S2_lllllllllllllll
    .private_segment_fixed_size: 0
    .sgpr_count:     54
    .sgpr_spill_count: 0
    .symbol:         _ZL9cpy_f32_qIXadL_ZL17cpy_blck_f32_q8_0PKcPcEELi32EEvS1_S2_lllllllllllllll.kd
    .uniform_work_group_size: 1
    .uses_dynamic_stack: false
    .vgpr_count:     92
    .vgpr_spill_count: 0
    .wavefront_size: 32
    .workgroup_processor_mode: 1
  - .args:
      - .address_space:  global
        .offset:         0
        .size:           8
        .value_kind:     global_buffer
      - .address_space:  global
        .offset:         8
        .size:           8
        .value_kind:     global_buffer
      - .offset:         16
        .size:           8
        .value_kind:     by_value
      - .offset:         24
        .size:           8
        .value_kind:     by_value
      - .offset:         32
        .size:           8
        .value_kind:     by_value
      - .offset:         40
        .size:           8
        .value_kind:     by_value
      - .offset:         48
        .size:           8
        .value_kind:     by_value
      - .offset:         56
        .size:           8
        .value_kind:     by_value
      - .offset:         64
        .size:           8
        .value_kind:     by_value
      - .offset:         72
        .size:           8
        .value_kind:     by_value
      - .offset:         80
        .size:           8
        .value_kind:     by_value
      - .offset:         88
        .size:           8
        .value_kind:     by_value
      - .offset:         96
        .size:           8
        .value_kind:     by_value
      - .offset:         104
        .size:           8
        .value_kind:     by_value
      - .offset:         112
        .size:           8
        .value_kind:     by_value
      - .offset:         120
        .size:           8
        .value_kind:     by_value
      - .offset:         128
        .size:           8
        .value_kind:     by_value
      - .offset:         136
        .size:           4
        .value_kind:     hidden_block_count_x
      - .offset:         140
        .size:           4
        .value_kind:     hidden_block_count_y
      - .offset:         144
        .size:           4
        .value_kind:     hidden_block_count_z
      - .offset:         148
        .size:           2
        .value_kind:     hidden_group_size_x
      - .offset:         150
        .size:           2
        .value_kind:     hidden_group_size_y
      - .offset:         152
        .size:           2
        .value_kind:     hidden_group_size_z
      - .offset:         154
        .size:           2
        .value_kind:     hidden_remainder_x
      - .offset:         156
        .size:           2
        .value_kind:     hidden_remainder_y
      - .offset:         158
        .size:           2
        .value_kind:     hidden_remainder_z
      - .offset:         176
        .size:           8
        .value_kind:     hidden_global_offset_x
      - .offset:         184
        .size:           8
        .value_kind:     hidden_global_offset_y
      - .offset:         192
        .size:           8
        .value_kind:     hidden_global_offset_z
      - .offset:         200
        .size:           2
        .value_kind:     hidden_grid_dims
    .group_segment_fixed_size: 0
    .kernarg_segment_align: 8
    .kernarg_segment_size: 392
    .language:       OpenCL C
    .language_version:
      - 2
      - 0
    .max_flat_workgroup_size: 1024
    .name:           _ZL9cpy_q_f32IXadL_ZL17cpy_blck_q8_0_f32PKcPcEELi32EEvS1_S2_lllllllllllllll
    .private_segment_fixed_size: 0
    .sgpr_count:     54
    .sgpr_spill_count: 0
    .symbol:         _ZL9cpy_q_f32IXadL_ZL17cpy_blck_q8_0_f32PKcPcEELi32EEvS1_S2_lllllllllllllll.kd
    .uniform_work_group_size: 1
    .uses_dynamic_stack: false
    .vgpr_count:     25
    .vgpr_spill_count: 0
    .wavefront_size: 32
    .workgroup_processor_mode: 1
  - .args:
      - .address_space:  global
        .offset:         0
        .size:           8
        .value_kind:     global_buffer
      - .address_space:  global
        .offset:         8
        .size:           8
        .value_kind:     global_buffer
      - .offset:         16
        .size:           8
        .value_kind:     by_value
      - .offset:         24
        .size:           8
        .value_kind:     by_value
      - .offset:         32
        .size:           8
        .value_kind:     by_value
      - .offset:         40
        .size:           8
        .value_kind:     by_value
      - .offset:         48
        .size:           8
        .value_kind:     by_value
      - .offset:         56
        .size:           8
        .value_kind:     by_value
      - .offset:         64
        .size:           8
        .value_kind:     by_value
      - .offset:         72
        .size:           8
        .value_kind:     by_value
      - .offset:         80
        .size:           8
        .value_kind:     by_value
      - .offset:         88
        .size:           8
        .value_kind:     by_value
      - .offset:         96
        .size:           8
        .value_kind:     by_value
      - .offset:         104
        .size:           8
        .value_kind:     by_value
      - .offset:         112
        .size:           8
        .value_kind:     by_value
      - .offset:         120
        .size:           8
        .value_kind:     by_value
      - .offset:         128
        .size:           8
        .value_kind:     by_value
      - .offset:         136
        .size:           4
        .value_kind:     hidden_block_count_x
      - .offset:         140
        .size:           4
        .value_kind:     hidden_block_count_y
      - .offset:         144
        .size:           4
        .value_kind:     hidden_block_count_z
      - .offset:         148
        .size:           2
        .value_kind:     hidden_group_size_x
      - .offset:         150
        .size:           2
        .value_kind:     hidden_group_size_y
      - .offset:         152
        .size:           2
        .value_kind:     hidden_group_size_z
      - .offset:         154
        .size:           2
        .value_kind:     hidden_remainder_x
      - .offset:         156
        .size:           2
        .value_kind:     hidden_remainder_y
      - .offset:         158
        .size:           2
        .value_kind:     hidden_remainder_z
      - .offset:         176
        .size:           8
        .value_kind:     hidden_global_offset_x
      - .offset:         184
        .size:           8
        .value_kind:     hidden_global_offset_y
      - .offset:         192
        .size:           8
        .value_kind:     hidden_global_offset_z
      - .offset:         200
        .size:           2
        .value_kind:     hidden_grid_dims
    .group_segment_fixed_size: 0
    .kernarg_segment_align: 8
    .kernarg_segment_size: 392
    .language:       OpenCL C
    .language_version:
      - 2
      - 0
    .max_flat_workgroup_size: 1024
    .name:           _ZL9cpy_f32_qIXadL_ZL17cpy_blck_f32_q4_0PKcPcEELi32EEvS1_S2_lllllllllllllll
    .private_segment_fixed_size: 0
    .sgpr_count:     54
    .sgpr_spill_count: 0
    .symbol:         _ZL9cpy_f32_qIXadL_ZL17cpy_blck_f32_q4_0PKcPcEELi32EEvS1_S2_lllllllllllllll.kd
    .uniform_work_group_size: 1
    .uses_dynamic_stack: false
    .vgpr_count:     75
    .vgpr_spill_count: 0
    .wavefront_size: 32
    .workgroup_processor_mode: 1
  - .args:
      - .address_space:  global
        .offset:         0
        .size:           8
        .value_kind:     global_buffer
      - .address_space:  global
        .offset:         8
        .size:           8
        .value_kind:     global_buffer
      - .offset:         16
        .size:           8
        .value_kind:     by_value
      - .offset:         24
        .size:           8
        .value_kind:     by_value
      - .offset:         32
        .size:           8
        .value_kind:     by_value
      - .offset:         40
        .size:           8
        .value_kind:     by_value
      - .offset:         48
        .size:           8
        .value_kind:     by_value
      - .offset:         56
        .size:           8
        .value_kind:     by_value
      - .offset:         64
        .size:           8
        .value_kind:     by_value
      - .offset:         72
        .size:           8
        .value_kind:     by_value
      - .offset:         80
        .size:           8
        .value_kind:     by_value
      - .offset:         88
        .size:           8
        .value_kind:     by_value
      - .offset:         96
        .size:           8
        .value_kind:     by_value
      - .offset:         104
        .size:           8
        .value_kind:     by_value
      - .offset:         112
        .size:           8
        .value_kind:     by_value
      - .offset:         120
        .size:           8
        .value_kind:     by_value
      - .offset:         128
        .size:           8
        .value_kind:     by_value
      - .offset:         136
        .size:           4
        .value_kind:     hidden_block_count_x
      - .offset:         140
        .size:           4
        .value_kind:     hidden_block_count_y
      - .offset:         144
        .size:           4
        .value_kind:     hidden_block_count_z
      - .offset:         148
        .size:           2
        .value_kind:     hidden_group_size_x
      - .offset:         150
        .size:           2
        .value_kind:     hidden_group_size_y
      - .offset:         152
        .size:           2
        .value_kind:     hidden_group_size_z
      - .offset:         154
        .size:           2
        .value_kind:     hidden_remainder_x
      - .offset:         156
        .size:           2
        .value_kind:     hidden_remainder_y
      - .offset:         158
        .size:           2
        .value_kind:     hidden_remainder_z
      - .offset:         176
        .size:           8
        .value_kind:     hidden_global_offset_x
      - .offset:         184
        .size:           8
        .value_kind:     hidden_global_offset_y
      - .offset:         192
        .size:           8
        .value_kind:     hidden_global_offset_z
      - .offset:         200
        .size:           2
        .value_kind:     hidden_grid_dims
    .group_segment_fixed_size: 0
    .kernarg_segment_align: 8
    .kernarg_segment_size: 392
    .language:       OpenCL C
    .language_version:
      - 2
      - 0
    .max_flat_workgroup_size: 1024
    .name:           _ZL9cpy_q_f32IXadL_ZL14cpy_blck_q_f32IXadL_ZL15dequantize_q4_0PKvliR15HIP_vector_typeIfLj2EEEELi32EEvPKcPcEELi32EEvS7_S8_lllllllllllllll
    .private_segment_fixed_size: 0
    .sgpr_count:     54
    .sgpr_spill_count: 0
    .symbol:         _ZL9cpy_q_f32IXadL_ZL14cpy_blck_q_f32IXadL_ZL15dequantize_q4_0PKvliR15HIP_vector_typeIfLj2EEEELi32EEvPKcPcEELi32EEvS7_S8_lllllllllllllll.kd
    .uniform_work_group_size: 1
    .uses_dynamic_stack: false
    .vgpr_count:     25
    .vgpr_spill_count: 0
    .wavefront_size: 32
    .workgroup_processor_mode: 1
  - .args:
      - .address_space:  global
        .offset:         0
        .size:           8
        .value_kind:     global_buffer
      - .address_space:  global
        .offset:         8
        .size:           8
        .value_kind:     global_buffer
      - .offset:         16
        .size:           8
        .value_kind:     by_value
      - .offset:         24
        .size:           8
        .value_kind:     by_value
      - .offset:         32
        .size:           8
        .value_kind:     by_value
      - .offset:         40
        .size:           8
        .value_kind:     by_value
      - .offset:         48
        .size:           8
        .value_kind:     by_value
      - .offset:         56
        .size:           8
        .value_kind:     by_value
      - .offset:         64
        .size:           8
        .value_kind:     by_value
      - .offset:         72
        .size:           8
        .value_kind:     by_value
      - .offset:         80
        .size:           8
        .value_kind:     by_value
      - .offset:         88
        .size:           8
        .value_kind:     by_value
      - .offset:         96
        .size:           8
        .value_kind:     by_value
      - .offset:         104
        .size:           8
        .value_kind:     by_value
      - .offset:         112
        .size:           8
        .value_kind:     by_value
      - .offset:         120
        .size:           8
        .value_kind:     by_value
      - .offset:         128
        .size:           8
        .value_kind:     by_value
      - .offset:         136
        .size:           4
        .value_kind:     hidden_block_count_x
      - .offset:         140
        .size:           4
        .value_kind:     hidden_block_count_y
      - .offset:         144
        .size:           4
        .value_kind:     hidden_block_count_z
      - .offset:         148
        .size:           2
        .value_kind:     hidden_group_size_x
      - .offset:         150
        .size:           2
        .value_kind:     hidden_group_size_y
      - .offset:         152
        .size:           2
        .value_kind:     hidden_group_size_z
      - .offset:         154
        .size:           2
        .value_kind:     hidden_remainder_x
      - .offset:         156
        .size:           2
        .value_kind:     hidden_remainder_y
      - .offset:         158
        .size:           2
        .value_kind:     hidden_remainder_z
      - .offset:         176
        .size:           8
        .value_kind:     hidden_global_offset_x
      - .offset:         184
        .size:           8
        .value_kind:     hidden_global_offset_y
      - .offset:         192
        .size:           8
        .value_kind:     hidden_global_offset_z
      - .offset:         200
        .size:           2
        .value_kind:     hidden_grid_dims
    .group_segment_fixed_size: 0
    .kernarg_segment_align: 8
    .kernarg_segment_size: 392
    .language:       OpenCL C
    .language_version:
      - 2
      - 0
    .max_flat_workgroup_size: 1024
    .name:           _ZL9cpy_f32_qIXadL_ZL17cpy_blck_f32_q4_1PKcPcEELi32EEvS1_S2_lllllllllllllll
    .private_segment_fixed_size: 0
    .sgpr_count:     54
    .sgpr_spill_count: 0
    .symbol:         _ZL9cpy_f32_qIXadL_ZL17cpy_blck_f32_q4_1PKcPcEELi32EEvS1_S2_lllllllllllllll.kd
    .uniform_work_group_size: 1
    .uses_dynamic_stack: false
    .vgpr_count:     77
    .vgpr_spill_count: 0
    .wavefront_size: 32
    .workgroup_processor_mode: 1
  - .args:
      - .address_space:  global
        .offset:         0
        .size:           8
        .value_kind:     global_buffer
      - .address_space:  global
        .offset:         8
        .size:           8
        .value_kind:     global_buffer
      - .offset:         16
        .size:           8
        .value_kind:     by_value
      - .offset:         24
        .size:           8
        .value_kind:     by_value
      - .offset:         32
        .size:           8
        .value_kind:     by_value
      - .offset:         40
        .size:           8
        .value_kind:     by_value
      - .offset:         48
        .size:           8
        .value_kind:     by_value
      - .offset:         56
        .size:           8
        .value_kind:     by_value
      - .offset:         64
        .size:           8
        .value_kind:     by_value
      - .offset:         72
        .size:           8
        .value_kind:     by_value
      - .offset:         80
        .size:           8
        .value_kind:     by_value
      - .offset:         88
        .size:           8
        .value_kind:     by_value
      - .offset:         96
        .size:           8
        .value_kind:     by_value
      - .offset:         104
        .size:           8
        .value_kind:     by_value
      - .offset:         112
        .size:           8
        .value_kind:     by_value
      - .offset:         120
        .size:           8
        .value_kind:     by_value
      - .offset:         128
        .size:           8
        .value_kind:     by_value
      - .offset:         136
        .size:           4
        .value_kind:     hidden_block_count_x
      - .offset:         140
        .size:           4
        .value_kind:     hidden_block_count_y
      - .offset:         144
        .size:           4
        .value_kind:     hidden_block_count_z
      - .offset:         148
        .size:           2
        .value_kind:     hidden_group_size_x
      - .offset:         150
        .size:           2
        .value_kind:     hidden_group_size_y
      - .offset:         152
        .size:           2
        .value_kind:     hidden_group_size_z
      - .offset:         154
        .size:           2
        .value_kind:     hidden_remainder_x
      - .offset:         156
        .size:           2
        .value_kind:     hidden_remainder_y
      - .offset:         158
        .size:           2
        .value_kind:     hidden_remainder_z
      - .offset:         176
        .size:           8
        .value_kind:     hidden_global_offset_x
      - .offset:         184
        .size:           8
        .value_kind:     hidden_global_offset_y
      - .offset:         192
        .size:           8
        .value_kind:     hidden_global_offset_z
      - .offset:         200
        .size:           2
        .value_kind:     hidden_grid_dims
    .group_segment_fixed_size: 0
    .kernarg_segment_align: 8
    .kernarg_segment_size: 392
    .language:       OpenCL C
    .language_version:
      - 2
      - 0
    .max_flat_workgroup_size: 1024
    .name:           _ZL9cpy_q_f32IXadL_ZL14cpy_blck_q_f32IXadL_ZL15dequantize_q4_1PKvliR15HIP_vector_typeIfLj2EEEELi32EEvPKcPcEELi32EEvS7_S8_lllllllllllllll
    .private_segment_fixed_size: 0
    .sgpr_count:     54
    .sgpr_spill_count: 0
    .symbol:         _ZL9cpy_q_f32IXadL_ZL14cpy_blck_q_f32IXadL_ZL15dequantize_q4_1PKvliR15HIP_vector_typeIfLj2EEEELi32EEvPKcPcEELi32EEvS7_S8_lllllllllllllll.kd
    .uniform_work_group_size: 1
    .uses_dynamic_stack: false
    .vgpr_count:     25
    .vgpr_spill_count: 0
    .wavefront_size: 32
    .workgroup_processor_mode: 1
  - .args:
      - .address_space:  global
        .offset:         0
        .size:           8
        .value_kind:     global_buffer
      - .address_space:  global
        .offset:         8
        .size:           8
        .value_kind:     global_buffer
      - .offset:         16
        .size:           8
        .value_kind:     by_value
      - .offset:         24
        .size:           8
        .value_kind:     by_value
      - .offset:         32
        .size:           8
        .value_kind:     by_value
      - .offset:         40
        .size:           8
        .value_kind:     by_value
      - .offset:         48
        .size:           8
        .value_kind:     by_value
      - .offset:         56
        .size:           8
        .value_kind:     by_value
      - .offset:         64
        .size:           8
        .value_kind:     by_value
      - .offset:         72
        .size:           8
        .value_kind:     by_value
      - .offset:         80
        .size:           8
        .value_kind:     by_value
      - .offset:         88
        .size:           8
        .value_kind:     by_value
      - .offset:         96
        .size:           8
        .value_kind:     by_value
      - .offset:         104
        .size:           8
        .value_kind:     by_value
      - .offset:         112
        .size:           8
        .value_kind:     by_value
      - .offset:         120
        .size:           8
        .value_kind:     by_value
      - .offset:         128
        .size:           8
        .value_kind:     by_value
      - .offset:         136
        .size:           4
        .value_kind:     hidden_block_count_x
      - .offset:         140
        .size:           4
        .value_kind:     hidden_block_count_y
      - .offset:         144
        .size:           4
        .value_kind:     hidden_block_count_z
      - .offset:         148
        .size:           2
        .value_kind:     hidden_group_size_x
      - .offset:         150
        .size:           2
        .value_kind:     hidden_group_size_y
      - .offset:         152
        .size:           2
        .value_kind:     hidden_group_size_z
      - .offset:         154
        .size:           2
        .value_kind:     hidden_remainder_x
      - .offset:         156
        .size:           2
        .value_kind:     hidden_remainder_y
      - .offset:         158
        .size:           2
        .value_kind:     hidden_remainder_z
      - .offset:         176
        .size:           8
        .value_kind:     hidden_global_offset_x
      - .offset:         184
        .size:           8
        .value_kind:     hidden_global_offset_y
      - .offset:         192
        .size:           8
        .value_kind:     hidden_global_offset_z
      - .offset:         200
        .size:           2
        .value_kind:     hidden_grid_dims
    .group_segment_fixed_size: 0
    .kernarg_segment_align: 8
    .kernarg_segment_size: 392
    .language:       OpenCL C
    .language_version:
      - 2
      - 0
    .max_flat_workgroup_size: 1024
    .name:           _ZL9cpy_f32_qIXadL_ZL17cpy_blck_f32_q5_0PKcPcEELi32EEvS1_S2_lllllllllllllll
    .private_segment_fixed_size: 0
    .sgpr_count:     54
    .sgpr_spill_count: 0
    .symbol:         _ZL9cpy_f32_qIXadL_ZL17cpy_blck_f32_q5_0PKcPcEELi32EEvS1_S2_lllllllllllllll.kd
    .uniform_work_group_size: 1
    .uses_dynamic_stack: false
    .vgpr_count:     57
    .vgpr_spill_count: 0
    .wavefront_size: 32
    .workgroup_processor_mode: 1
  - .args:
      - .address_space:  global
        .offset:         0
        .size:           8
        .value_kind:     global_buffer
      - .address_space:  global
        .offset:         8
        .size:           8
        .value_kind:     global_buffer
      - .offset:         16
        .size:           8
        .value_kind:     by_value
      - .offset:         24
        .size:           8
        .value_kind:     by_value
      - .offset:         32
        .size:           8
        .value_kind:     by_value
      - .offset:         40
        .size:           8
        .value_kind:     by_value
      - .offset:         48
        .size:           8
        .value_kind:     by_value
      - .offset:         56
        .size:           8
        .value_kind:     by_value
      - .offset:         64
        .size:           8
        .value_kind:     by_value
      - .offset:         72
        .size:           8
        .value_kind:     by_value
      - .offset:         80
        .size:           8
        .value_kind:     by_value
      - .offset:         88
        .size:           8
        .value_kind:     by_value
      - .offset:         96
        .size:           8
        .value_kind:     by_value
      - .offset:         104
        .size:           8
        .value_kind:     by_value
      - .offset:         112
        .size:           8
        .value_kind:     by_value
      - .offset:         120
        .size:           8
        .value_kind:     by_value
      - .offset:         128
        .size:           8
        .value_kind:     by_value
      - .offset:         136
        .size:           4
        .value_kind:     hidden_block_count_x
      - .offset:         140
        .size:           4
        .value_kind:     hidden_block_count_y
      - .offset:         144
        .size:           4
        .value_kind:     hidden_block_count_z
      - .offset:         148
        .size:           2
        .value_kind:     hidden_group_size_x
      - .offset:         150
        .size:           2
        .value_kind:     hidden_group_size_y
      - .offset:         152
        .size:           2
        .value_kind:     hidden_group_size_z
      - .offset:         154
        .size:           2
        .value_kind:     hidden_remainder_x
      - .offset:         156
        .size:           2
        .value_kind:     hidden_remainder_y
      - .offset:         158
        .size:           2
        .value_kind:     hidden_remainder_z
      - .offset:         176
        .size:           8
        .value_kind:     hidden_global_offset_x
      - .offset:         184
        .size:           8
        .value_kind:     hidden_global_offset_y
      - .offset:         192
        .size:           8
        .value_kind:     hidden_global_offset_z
      - .offset:         200
        .size:           2
        .value_kind:     hidden_grid_dims
    .group_segment_fixed_size: 0
    .kernarg_segment_align: 8
    .kernarg_segment_size: 392
    .language:       OpenCL C
    .language_version:
      - 2
      - 0
    .max_flat_workgroup_size: 1024
    .name:           _ZL9cpy_q_f32IXadL_ZL14cpy_blck_q_f32IXadL_ZL15dequantize_q5_0PKvliR15HIP_vector_typeIfLj2EEEELi32EEvPKcPcEELi32EEvS7_S8_lllllllllllllll
    .private_segment_fixed_size: 0
    .sgpr_count:     54
    .sgpr_spill_count: 0
    .symbol:         _ZL9cpy_q_f32IXadL_ZL14cpy_blck_q_f32IXadL_ZL15dequantize_q5_0PKvliR15HIP_vector_typeIfLj2EEEELi32EEvPKcPcEELi32EEvS7_S8_lllllllllllllll.kd
    .uniform_work_group_size: 1
    .uses_dynamic_stack: false
    .vgpr_count:     25
    .vgpr_spill_count: 0
    .wavefront_size: 32
    .workgroup_processor_mode: 1
  - .args:
      - .address_space:  global
        .offset:         0
        .size:           8
        .value_kind:     global_buffer
      - .address_space:  global
        .offset:         8
        .size:           8
        .value_kind:     global_buffer
      - .offset:         16
        .size:           8
        .value_kind:     by_value
      - .offset:         24
        .size:           8
        .value_kind:     by_value
      - .offset:         32
        .size:           8
        .value_kind:     by_value
      - .offset:         40
        .size:           8
        .value_kind:     by_value
      - .offset:         48
        .size:           8
        .value_kind:     by_value
      - .offset:         56
        .size:           8
        .value_kind:     by_value
      - .offset:         64
        .size:           8
        .value_kind:     by_value
      - .offset:         72
        .size:           8
        .value_kind:     by_value
      - .offset:         80
        .size:           8
        .value_kind:     by_value
      - .offset:         88
        .size:           8
        .value_kind:     by_value
      - .offset:         96
        .size:           8
        .value_kind:     by_value
      - .offset:         104
        .size:           8
        .value_kind:     by_value
      - .offset:         112
        .size:           8
        .value_kind:     by_value
      - .offset:         120
        .size:           8
        .value_kind:     by_value
      - .offset:         128
        .size:           8
        .value_kind:     by_value
      - .offset:         136
        .size:           4
        .value_kind:     hidden_block_count_x
      - .offset:         140
        .size:           4
        .value_kind:     hidden_block_count_y
      - .offset:         144
        .size:           4
        .value_kind:     hidden_block_count_z
      - .offset:         148
        .size:           2
        .value_kind:     hidden_group_size_x
      - .offset:         150
        .size:           2
        .value_kind:     hidden_group_size_y
      - .offset:         152
        .size:           2
        .value_kind:     hidden_group_size_z
      - .offset:         154
        .size:           2
        .value_kind:     hidden_remainder_x
      - .offset:         156
        .size:           2
        .value_kind:     hidden_remainder_y
      - .offset:         158
        .size:           2
        .value_kind:     hidden_remainder_z
      - .offset:         176
        .size:           8
        .value_kind:     hidden_global_offset_x
      - .offset:         184
        .size:           8
        .value_kind:     hidden_global_offset_y
      - .offset:         192
        .size:           8
        .value_kind:     hidden_global_offset_z
      - .offset:         200
        .size:           2
        .value_kind:     hidden_grid_dims
    .group_segment_fixed_size: 0
    .kernarg_segment_align: 8
    .kernarg_segment_size: 392
    .language:       OpenCL C
    .language_version:
      - 2
      - 0
    .max_flat_workgroup_size: 1024
    .name:           _ZL9cpy_f32_qIXadL_ZL17cpy_blck_f32_q5_1PKcPcEELi32EEvS1_S2_lllllllllllllll
    .private_segment_fixed_size: 0
    .sgpr_count:     54
    .sgpr_spill_count: 0
    .symbol:         _ZL9cpy_f32_qIXadL_ZL17cpy_blck_f32_q5_1PKcPcEELi32EEvS1_S2_lllllllllllllll.kd
    .uniform_work_group_size: 1
    .uses_dynamic_stack: false
    .vgpr_count:     57
    .vgpr_spill_count: 0
    .wavefront_size: 32
    .workgroup_processor_mode: 1
  - .args:
      - .address_space:  global
        .offset:         0
        .size:           8
        .value_kind:     global_buffer
      - .address_space:  global
        .offset:         8
        .size:           8
        .value_kind:     global_buffer
      - .offset:         16
        .size:           8
        .value_kind:     by_value
      - .offset:         24
        .size:           8
        .value_kind:     by_value
      - .offset:         32
        .size:           8
        .value_kind:     by_value
      - .offset:         40
        .size:           8
        .value_kind:     by_value
      - .offset:         48
        .size:           8
        .value_kind:     by_value
      - .offset:         56
        .size:           8
        .value_kind:     by_value
      - .offset:         64
        .size:           8
        .value_kind:     by_value
      - .offset:         72
        .size:           8
        .value_kind:     by_value
      - .offset:         80
        .size:           8
        .value_kind:     by_value
      - .offset:         88
        .size:           8
        .value_kind:     by_value
      - .offset:         96
        .size:           8
        .value_kind:     by_value
      - .offset:         104
        .size:           8
        .value_kind:     by_value
      - .offset:         112
        .size:           8
        .value_kind:     by_value
      - .offset:         120
        .size:           8
        .value_kind:     by_value
      - .offset:         128
        .size:           8
        .value_kind:     by_value
      - .offset:         136
        .size:           4
        .value_kind:     hidden_block_count_x
      - .offset:         140
        .size:           4
        .value_kind:     hidden_block_count_y
      - .offset:         144
        .size:           4
        .value_kind:     hidden_block_count_z
      - .offset:         148
        .size:           2
        .value_kind:     hidden_group_size_x
      - .offset:         150
        .size:           2
        .value_kind:     hidden_group_size_y
      - .offset:         152
        .size:           2
        .value_kind:     hidden_group_size_z
      - .offset:         154
        .size:           2
        .value_kind:     hidden_remainder_x
      - .offset:         156
        .size:           2
        .value_kind:     hidden_remainder_y
      - .offset:         158
        .size:           2
        .value_kind:     hidden_remainder_z
      - .offset:         176
        .size:           8
        .value_kind:     hidden_global_offset_x
      - .offset:         184
        .size:           8
        .value_kind:     hidden_global_offset_y
      - .offset:         192
        .size:           8
        .value_kind:     hidden_global_offset_z
      - .offset:         200
        .size:           2
        .value_kind:     hidden_grid_dims
    .group_segment_fixed_size: 0
    .kernarg_segment_align: 8
    .kernarg_segment_size: 392
    .language:       OpenCL C
    .language_version:
      - 2
      - 0
    .max_flat_workgroup_size: 1024
    .name:           _ZL9cpy_q_f32IXadL_ZL14cpy_blck_q_f32IXadL_ZL15dequantize_q5_1PKvliR15HIP_vector_typeIfLj2EEEELi32EEvPKcPcEELi32EEvS7_S8_lllllllllllllll
    .private_segment_fixed_size: 0
    .sgpr_count:     54
    .sgpr_spill_count: 0
    .symbol:         _ZL9cpy_q_f32IXadL_ZL14cpy_blck_q_f32IXadL_ZL15dequantize_q5_1PKvliR15HIP_vector_typeIfLj2EEEELi32EEvPKcPcEELi32EEvS7_S8_lllllllllllllll.kd
    .uniform_work_group_size: 1
    .uses_dynamic_stack: false
    .vgpr_count:     25
    .vgpr_spill_count: 0
    .wavefront_size: 32
    .workgroup_processor_mode: 1
  - .args:
      - .address_space:  global
        .offset:         0
        .size:           8
        .value_kind:     global_buffer
      - .address_space:  global
        .offset:         8
        .size:           8
        .value_kind:     global_buffer
      - .offset:         16
        .size:           8
        .value_kind:     by_value
      - .offset:         24
        .size:           8
        .value_kind:     by_value
      - .offset:         32
        .size:           8
        .value_kind:     by_value
      - .offset:         40
        .size:           8
        .value_kind:     by_value
      - .offset:         48
        .size:           8
        .value_kind:     by_value
      - .offset:         56
        .size:           8
        .value_kind:     by_value
      - .offset:         64
        .size:           8
        .value_kind:     by_value
      - .offset:         72
        .size:           8
        .value_kind:     by_value
      - .offset:         80
        .size:           8
        .value_kind:     by_value
      - .offset:         88
        .size:           8
        .value_kind:     by_value
      - .offset:         96
        .size:           8
        .value_kind:     by_value
      - .offset:         104
        .size:           8
        .value_kind:     by_value
      - .offset:         112
        .size:           8
        .value_kind:     by_value
      - .offset:         120
        .size:           8
        .value_kind:     by_value
      - .offset:         128
        .size:           8
        .value_kind:     by_value
      - .offset:         136
        .size:           4
        .value_kind:     hidden_block_count_x
      - .offset:         140
        .size:           4
        .value_kind:     hidden_block_count_y
      - .offset:         144
        .size:           4
        .value_kind:     hidden_block_count_z
      - .offset:         148
        .size:           2
        .value_kind:     hidden_group_size_x
      - .offset:         150
        .size:           2
        .value_kind:     hidden_group_size_y
      - .offset:         152
        .size:           2
        .value_kind:     hidden_group_size_z
      - .offset:         154
        .size:           2
        .value_kind:     hidden_remainder_x
      - .offset:         156
        .size:           2
        .value_kind:     hidden_remainder_y
      - .offset:         158
        .size:           2
        .value_kind:     hidden_remainder_z
      - .offset:         176
        .size:           8
        .value_kind:     hidden_global_offset_x
      - .offset:         184
        .size:           8
        .value_kind:     hidden_global_offset_y
      - .offset:         192
        .size:           8
        .value_kind:     hidden_global_offset_z
      - .offset:         200
        .size:           2
        .value_kind:     hidden_grid_dims
    .group_segment_fixed_size: 0
    .kernarg_segment_align: 8
    .kernarg_segment_size: 392
    .language:       OpenCL C
    .language_version:
      - 2
      - 0
    .max_flat_workgroup_size: 1024
    .name:           _ZL9cpy_f32_qIXadL_ZL19cpy_blck_f32_iq4_nlPKcPcEELi32EEvS1_S2_lllllllllllllll
    .private_segment_fixed_size: 0
    .sgpr_count:     54
    .sgpr_spill_count: 0
    .symbol:         _ZL9cpy_f32_qIXadL_ZL19cpy_blck_f32_iq4_nlPKcPcEELi32EEvS1_S2_lllllllllllllll.kd
    .uniform_work_group_size: 1
    .uses_dynamic_stack: false
    .vgpr_count:     48
    .vgpr_spill_count: 0
    .wavefront_size: 32
    .workgroup_processor_mode: 1
  - .args:
      - .address_space:  global
        .offset:         0
        .size:           8
        .value_kind:     global_buffer
      - .address_space:  global
        .offset:         8
        .size:           8
        .value_kind:     global_buffer
      - .offset:         16
        .size:           8
        .value_kind:     by_value
      - .offset:         24
        .size:           8
        .value_kind:     by_value
      - .offset:         32
        .size:           8
        .value_kind:     by_value
      - .offset:         40
        .size:           8
        .value_kind:     by_value
      - .offset:         48
        .size:           8
        .value_kind:     by_value
      - .offset:         56
        .size:           8
        .value_kind:     by_value
      - .offset:         64
        .size:           8
        .value_kind:     by_value
      - .offset:         72
        .size:           8
        .value_kind:     by_value
      - .offset:         80
        .size:           8
        .value_kind:     by_value
      - .offset:         88
        .size:           8
        .value_kind:     by_value
      - .offset:         96
        .size:           8
        .value_kind:     by_value
      - .offset:         104
        .size:           8
        .value_kind:     by_value
      - .offset:         112
        .size:           8
        .value_kind:     by_value
      - .offset:         120
        .size:           8
        .value_kind:     by_value
      - .offset:         128
        .size:           8
        .value_kind:     by_value
    .group_segment_fixed_size: 8448
    .kernarg_segment_align: 8
    .kernarg_segment_size: 136
    .language:       OpenCL C
    .language_version:
      - 2
      - 0
    .max_flat_workgroup_size: 1024
    .name:           _ZL20cpy_scalar_transposeIfEvPKcPclllllllllllllll
    .private_segment_fixed_size: 0
    .sgpr_count:     32
    .sgpr_spill_count: 0
    .symbol:         _ZL20cpy_scalar_transposeIfEvPKcPclllllllllllllll.kd
    .uniform_work_group_size: 1
    .uses_dynamic_stack: false
    .vgpr_count:     21
    .vgpr_spill_count: 0
    .wavefront_size: 32
    .workgroup_processor_mode: 1
  - .args:
      - .address_space:  global
        .offset:         0
        .size:           8
        .value_kind:     global_buffer
      - .address_space:  global
        .offset:         8
        .size:           8
        .value_kind:     global_buffer
      - .offset:         16
        .size:           8
        .value_kind:     by_value
      - .offset:         24
        .size:           8
        .value_kind:     by_value
      - .offset:         32
        .size:           8
        .value_kind:     by_value
      - .offset:         40
        .size:           8
        .value_kind:     by_value
      - .offset:         48
        .size:           8
        .value_kind:     by_value
      - .offset:         56
        .size:           8
        .value_kind:     by_value
      - .offset:         64
        .size:           8
        .value_kind:     by_value
      - .offset:         72
        .size:           8
        .value_kind:     by_value
      - .offset:         80
        .size:           8
        .value_kind:     by_value
      - .offset:         88
        .size:           8
        .value_kind:     by_value
      - .offset:         96
        .size:           8
        .value_kind:     by_value
      - .offset:         104
        .size:           8
        .value_kind:     by_value
      - .offset:         112
        .size:           8
        .value_kind:     by_value
      - .offset:         120
        .size:           8
        .value_kind:     by_value
      - .offset:         128
        .size:           8
        .value_kind:     by_value
      - .offset:         136
        .size:           4
        .value_kind:     hidden_block_count_x
      - .offset:         140
        .size:           4
        .value_kind:     hidden_block_count_y
      - .offset:         144
        .size:           4
        .value_kind:     hidden_block_count_z
      - .offset:         148
        .size:           2
        .value_kind:     hidden_group_size_x
      - .offset:         150
        .size:           2
        .value_kind:     hidden_group_size_y
      - .offset:         152
        .size:           2
        .value_kind:     hidden_group_size_z
      - .offset:         154
        .size:           2
        .value_kind:     hidden_remainder_x
      - .offset:         156
        .size:           2
        .value_kind:     hidden_remainder_y
      - .offset:         158
        .size:           2
        .value_kind:     hidden_remainder_z
      - .offset:         176
        .size:           8
        .value_kind:     hidden_global_offset_x
      - .offset:         184
        .size:           8
        .value_kind:     hidden_global_offset_y
      - .offset:         192
        .size:           8
        .value_kind:     hidden_global_offset_z
      - .offset:         200
        .size:           2
        .value_kind:     hidden_grid_dims
    .group_segment_fixed_size: 0
    .kernarg_segment_align: 8
    .kernarg_segment_size: 392
    .language:       OpenCL C
    .language_version:
      - 2
      - 0
    .max_flat_workgroup_size: 1024
    .name:           _ZL10cpy_scalarIXadL_ZL12cpy_1_scalarIffEvPKcPcEEEvS2_S3_lllllllllllllll
    .private_segment_fixed_size: 0
    .sgpr_count:     54
    .sgpr_spill_count: 0
    .symbol:         _ZL10cpy_scalarIXadL_ZL12cpy_1_scalarIffEvPKcPcEEEvS2_S3_lllllllllllllll.kd
    .uniform_work_group_size: 1
    .uses_dynamic_stack: false
    .vgpr_count:     25
    .vgpr_spill_count: 0
    .wavefront_size: 32
    .workgroup_processor_mode: 1
  - .args:
      - .address_space:  global
        .offset:         0
        .size:           8
        .value_kind:     global_buffer
      - .address_space:  global
        .offset:         8
        .size:           8
        .value_kind:     global_buffer
      - .offset:         16
        .size:           8
        .value_kind:     by_value
      - .offset:         24
        .size:           4
        .value_kind:     hidden_block_count_x
      - .offset:         28
        .size:           4
        .value_kind:     hidden_block_count_y
      - .offset:         32
        .size:           4
        .value_kind:     hidden_block_count_z
      - .offset:         36
        .size:           2
        .value_kind:     hidden_group_size_x
      - .offset:         38
        .size:           2
        .value_kind:     hidden_group_size_y
      - .offset:         40
        .size:           2
        .value_kind:     hidden_group_size_z
      - .offset:         42
        .size:           2
        .value_kind:     hidden_remainder_x
      - .offset:         44
        .size:           2
        .value_kind:     hidden_remainder_y
      - .offset:         46
        .size:           2
        .value_kind:     hidden_remainder_z
      - .offset:         64
        .size:           8
        .value_kind:     hidden_global_offset_x
      - .offset:         72
        .size:           8
        .value_kind:     hidden_global_offset_y
      - .offset:         80
        .size:           8
        .value_kind:     hidden_global_offset_z
      - .offset:         88
        .size:           2
        .value_kind:     hidden_grid_dims
    .group_segment_fixed_size: 0
    .kernarg_segment_align: 8
    .kernarg_segment_size: 280
    .language:       OpenCL C
    .language_version:
      - 2
      - 0
    .max_flat_workgroup_size: 1024
    .name:           _ZL21cpy_scalar_contiguousIf14__hip_bfloat16EvPKcPcl
    .private_segment_fixed_size: 0
    .sgpr_count:     18
    .sgpr_spill_count: 0
    .symbol:         _ZL21cpy_scalar_contiguousIf14__hip_bfloat16EvPKcPcl.kd
    .uniform_work_group_size: 1
    .uses_dynamic_stack: false
    .vgpr_count:     5
    .vgpr_spill_count: 0
    .wavefront_size: 32
    .workgroup_processor_mode: 1
  - .args:
      - .address_space:  global
        .offset:         0
        .size:           8
        .value_kind:     global_buffer
      - .address_space:  global
        .offset:         8
        .size:           8
        .value_kind:     global_buffer
      - .offset:         16
        .size:           8
        .value_kind:     by_value
      - .offset:         24
        .size:           8
        .value_kind:     by_value
      - .offset:         32
        .size:           8
        .value_kind:     by_value
      - .offset:         40
        .size:           8
        .value_kind:     by_value
      - .offset:         48
        .size:           8
        .value_kind:     by_value
      - .offset:         56
        .size:           8
        .value_kind:     by_value
      - .offset:         64
        .size:           8
        .value_kind:     by_value
      - .offset:         72
        .size:           8
        .value_kind:     by_value
      - .offset:         80
        .size:           8
        .value_kind:     by_value
      - .offset:         88
        .size:           8
        .value_kind:     by_value
      - .offset:         96
        .size:           8
        .value_kind:     by_value
      - .offset:         104
        .size:           8
        .value_kind:     by_value
      - .offset:         112
        .size:           8
        .value_kind:     by_value
      - .offset:         120
        .size:           8
        .value_kind:     by_value
      - .offset:         128
        .size:           8
        .value_kind:     by_value
    .group_segment_fixed_size: 8448
    .kernarg_segment_align: 8
    .kernarg_segment_size: 136
    .language:       OpenCL C
    .language_version:
      - 2
      - 0
    .max_flat_workgroup_size: 1024
    .name:           _ZL20cpy_scalar_transposeI14__hip_bfloat16EvPKcPclllllllllllllll
    .private_segment_fixed_size: 0
    .sgpr_count:     32
    .sgpr_spill_count: 0
    .symbol:         _ZL20cpy_scalar_transposeI14__hip_bfloat16EvPKcPclllllllllllllll.kd
    .uniform_work_group_size: 1
    .uses_dynamic_stack: false
    .vgpr_count:     20
    .vgpr_spill_count: 0
    .wavefront_size: 32
    .workgroup_processor_mode: 1
  - .args:
      - .address_space:  global
        .offset:         0
        .size:           8
        .value_kind:     global_buffer
      - .address_space:  global
        .offset:         8
        .size:           8
        .value_kind:     global_buffer
      - .offset:         16
        .size:           8
        .value_kind:     by_value
      - .offset:         24
        .size:           8
        .value_kind:     by_value
      - .offset:         32
        .size:           8
        .value_kind:     by_value
      - .offset:         40
        .size:           8
        .value_kind:     by_value
      - .offset:         48
        .size:           8
        .value_kind:     by_value
      - .offset:         56
        .size:           8
        .value_kind:     by_value
      - .offset:         64
        .size:           8
        .value_kind:     by_value
      - .offset:         72
        .size:           8
        .value_kind:     by_value
      - .offset:         80
        .size:           8
        .value_kind:     by_value
      - .offset:         88
        .size:           8
        .value_kind:     by_value
      - .offset:         96
        .size:           8
        .value_kind:     by_value
      - .offset:         104
        .size:           8
        .value_kind:     by_value
      - .offset:         112
        .size:           8
        .value_kind:     by_value
      - .offset:         120
        .size:           8
        .value_kind:     by_value
      - .offset:         128
        .size:           8
        .value_kind:     by_value
      - .offset:         136
        .size:           4
        .value_kind:     hidden_block_count_x
      - .offset:         140
        .size:           4
        .value_kind:     hidden_block_count_y
      - .offset:         144
        .size:           4
        .value_kind:     hidden_block_count_z
      - .offset:         148
        .size:           2
        .value_kind:     hidden_group_size_x
      - .offset:         150
        .size:           2
        .value_kind:     hidden_group_size_y
      - .offset:         152
        .size:           2
        .value_kind:     hidden_group_size_z
      - .offset:         154
        .size:           2
        .value_kind:     hidden_remainder_x
      - .offset:         156
        .size:           2
        .value_kind:     hidden_remainder_y
      - .offset:         158
        .size:           2
        .value_kind:     hidden_remainder_z
      - .offset:         176
        .size:           8
        .value_kind:     hidden_global_offset_x
      - .offset:         184
        .size:           8
        .value_kind:     hidden_global_offset_y
      - .offset:         192
        .size:           8
        .value_kind:     hidden_global_offset_z
      - .offset:         200
        .size:           2
        .value_kind:     hidden_grid_dims
    .group_segment_fixed_size: 0
    .kernarg_segment_align: 8
    .kernarg_segment_size: 392
    .language:       OpenCL C
    .language_version:
      - 2
      - 0
    .max_flat_workgroup_size: 1024
    .name:           _ZL10cpy_scalarIXadL_ZL12cpy_1_scalarIf14__hip_bfloat16EvPKcPcEEEvS3_S4_lllllllllllllll
    .private_segment_fixed_size: 0
    .sgpr_count:     54
    .sgpr_spill_count: 0
    .symbol:         _ZL10cpy_scalarIXadL_ZL12cpy_1_scalarIf14__hip_bfloat16EvPKcPcEEEvS3_S4_lllllllllllllll.kd
    .uniform_work_group_size: 1
    .uses_dynamic_stack: false
    .vgpr_count:     25
    .vgpr_spill_count: 0
    .wavefront_size: 32
    .workgroup_processor_mode: 1
  - .args:
      - .address_space:  global
        .offset:         0
        .size:           8
        .value_kind:     global_buffer
      - .address_space:  global
        .offset:         8
        .size:           8
        .value_kind:     global_buffer
      - .offset:         16
        .size:           8
        .value_kind:     by_value
      - .offset:         24
        .size:           4
        .value_kind:     hidden_block_count_x
      - .offset:         28
        .size:           4
        .value_kind:     hidden_block_count_y
      - .offset:         32
        .size:           4
        .value_kind:     hidden_block_count_z
      - .offset:         36
        .size:           2
        .value_kind:     hidden_group_size_x
      - .offset:         38
        .size:           2
        .value_kind:     hidden_group_size_y
      - .offset:         40
        .size:           2
        .value_kind:     hidden_group_size_z
      - .offset:         42
        .size:           2
        .value_kind:     hidden_remainder_x
      - .offset:         44
        .size:           2
        .value_kind:     hidden_remainder_y
      - .offset:         46
        .size:           2
        .value_kind:     hidden_remainder_z
      - .offset:         64
        .size:           8
        .value_kind:     hidden_global_offset_x
      - .offset:         72
        .size:           8
        .value_kind:     hidden_global_offset_y
      - .offset:         80
        .size:           8
        .value_kind:     hidden_global_offset_z
      - .offset:         88
        .size:           2
        .value_kind:     hidden_grid_dims
    .group_segment_fixed_size: 0
    .kernarg_segment_align: 8
    .kernarg_segment_size: 280
    .language:       OpenCL C
    .language_version:
      - 2
      - 0
    .max_flat_workgroup_size: 1024
    .name:           _ZL21cpy_scalar_contiguousIf6__halfEvPKcPcl
    .private_segment_fixed_size: 0
    .sgpr_count:     18
    .sgpr_spill_count: 0
    .symbol:         _ZL21cpy_scalar_contiguousIf6__halfEvPKcPcl.kd
    .uniform_work_group_size: 1
    .uses_dynamic_stack: false
    .vgpr_count:     5
    .vgpr_spill_count: 0
    .wavefront_size: 32
    .workgroup_processor_mode: 1
  - .args:
      - .address_space:  global
        .offset:         0
        .size:           8
        .value_kind:     global_buffer
      - .address_space:  global
        .offset:         8
        .size:           8
        .value_kind:     global_buffer
      - .offset:         16
        .size:           8
        .value_kind:     by_value
      - .offset:         24
        .size:           8
        .value_kind:     by_value
      - .offset:         32
        .size:           8
        .value_kind:     by_value
      - .offset:         40
        .size:           8
        .value_kind:     by_value
      - .offset:         48
        .size:           8
        .value_kind:     by_value
      - .offset:         56
        .size:           8
        .value_kind:     by_value
      - .offset:         64
        .size:           8
        .value_kind:     by_value
      - .offset:         72
        .size:           8
        .value_kind:     by_value
      - .offset:         80
        .size:           8
        .value_kind:     by_value
      - .offset:         88
        .size:           8
        .value_kind:     by_value
      - .offset:         96
        .size:           8
        .value_kind:     by_value
      - .offset:         104
        .size:           8
        .value_kind:     by_value
      - .offset:         112
        .size:           8
        .value_kind:     by_value
      - .offset:         120
        .size:           8
        .value_kind:     by_value
      - .offset:         128
        .size:           8
        .value_kind:     by_value
    .group_segment_fixed_size: 8448
    .kernarg_segment_align: 8
    .kernarg_segment_size: 136
    .language:       OpenCL C
    .language_version:
      - 2
      - 0
    .max_flat_workgroup_size: 1024
    .name:           _ZL20cpy_scalar_transposeI6__halfEvPKcPclllllllllllllll
    .private_segment_fixed_size: 0
    .sgpr_count:     32
    .sgpr_spill_count: 0
    .symbol:         _ZL20cpy_scalar_transposeI6__halfEvPKcPclllllllllllllll.kd
    .uniform_work_group_size: 1
    .uses_dynamic_stack: false
    .vgpr_count:     20
    .vgpr_spill_count: 0
    .wavefront_size: 32
    .workgroup_processor_mode: 1
  - .args:
      - .address_space:  global
        .offset:         0
        .size:           8
        .value_kind:     global_buffer
      - .address_space:  global
        .offset:         8
        .size:           8
        .value_kind:     global_buffer
      - .offset:         16
        .size:           8
        .value_kind:     by_value
      - .offset:         24
        .size:           8
        .value_kind:     by_value
      - .offset:         32
        .size:           8
        .value_kind:     by_value
      - .offset:         40
        .size:           8
        .value_kind:     by_value
      - .offset:         48
        .size:           8
        .value_kind:     by_value
      - .offset:         56
        .size:           8
        .value_kind:     by_value
      - .offset:         64
        .size:           8
        .value_kind:     by_value
      - .offset:         72
        .size:           8
        .value_kind:     by_value
      - .offset:         80
        .size:           8
        .value_kind:     by_value
      - .offset:         88
        .size:           8
        .value_kind:     by_value
      - .offset:         96
        .size:           8
        .value_kind:     by_value
      - .offset:         104
        .size:           8
        .value_kind:     by_value
      - .offset:         112
        .size:           8
        .value_kind:     by_value
      - .offset:         120
        .size:           8
        .value_kind:     by_value
      - .offset:         128
        .size:           8
        .value_kind:     by_value
      - .offset:         136
        .size:           4
        .value_kind:     hidden_block_count_x
      - .offset:         140
        .size:           4
        .value_kind:     hidden_block_count_y
      - .offset:         144
        .size:           4
        .value_kind:     hidden_block_count_z
      - .offset:         148
        .size:           2
        .value_kind:     hidden_group_size_x
      - .offset:         150
        .size:           2
        .value_kind:     hidden_group_size_y
      - .offset:         152
        .size:           2
        .value_kind:     hidden_group_size_z
      - .offset:         154
        .size:           2
        .value_kind:     hidden_remainder_x
      - .offset:         156
        .size:           2
        .value_kind:     hidden_remainder_y
      - .offset:         158
        .size:           2
        .value_kind:     hidden_remainder_z
      - .offset:         176
        .size:           8
        .value_kind:     hidden_global_offset_x
      - .offset:         184
        .size:           8
        .value_kind:     hidden_global_offset_y
      - .offset:         192
        .size:           8
        .value_kind:     hidden_global_offset_z
      - .offset:         200
        .size:           2
        .value_kind:     hidden_grid_dims
    .group_segment_fixed_size: 0
    .kernarg_segment_align: 8
    .kernarg_segment_size: 392
    .language:       OpenCL C
    .language_version:
      - 2
      - 0
    .max_flat_workgroup_size: 1024
    .name:           _ZL10cpy_scalarIXadL_ZL12cpy_1_scalarIf6__halfEvPKcPcEEEvS3_S4_lllllllllllllll
    .private_segment_fixed_size: 0
    .sgpr_count:     54
    .sgpr_spill_count: 0
    .symbol:         _ZL10cpy_scalarIXadL_ZL12cpy_1_scalarIf6__halfEvPKcPcEEEvS3_S4_lllllllllllllll.kd
    .uniform_work_group_size: 1
    .uses_dynamic_stack: false
    .vgpr_count:     25
    .vgpr_spill_count: 0
    .wavefront_size: 32
    .workgroup_processor_mode: 1
  - .args:
      - .address_space:  global
        .offset:         0
        .size:           8
        .value_kind:     global_buffer
      - .address_space:  global
        .offset:         8
        .size:           8
        .value_kind:     global_buffer
      - .offset:         16
        .size:           8
        .value_kind:     by_value
      - .offset:         24
        .size:           8
        .value_kind:     by_value
      - .offset:         32
        .size:           8
        .value_kind:     by_value
      - .offset:         40
        .size:           8
        .value_kind:     by_value
      - .offset:         48
        .size:           8
        .value_kind:     by_value
      - .offset:         56
        .size:           8
        .value_kind:     by_value
      - .offset:         64
        .size:           8
        .value_kind:     by_value
      - .offset:         72
        .size:           8
        .value_kind:     by_value
      - .offset:         80
        .size:           8
        .value_kind:     by_value
      - .offset:         88
        .size:           8
        .value_kind:     by_value
      - .offset:         96
        .size:           8
        .value_kind:     by_value
      - .offset:         104
        .size:           8
        .value_kind:     by_value
      - .offset:         112
        .size:           8
        .value_kind:     by_value
      - .offset:         120
        .size:           8
        .value_kind:     by_value
      - .offset:         128
        .size:           8
        .value_kind:     by_value
      - .offset:         136
        .size:           4
        .value_kind:     hidden_block_count_x
      - .offset:         140
        .size:           4
        .value_kind:     hidden_block_count_y
      - .offset:         144
        .size:           4
        .value_kind:     hidden_block_count_z
      - .offset:         148
        .size:           2
        .value_kind:     hidden_group_size_x
      - .offset:         150
        .size:           2
        .value_kind:     hidden_group_size_y
      - .offset:         152
        .size:           2
        .value_kind:     hidden_group_size_z
      - .offset:         154
        .size:           2
        .value_kind:     hidden_remainder_x
      - .offset:         156
        .size:           2
        .value_kind:     hidden_remainder_y
      - .offset:         158
        .size:           2
        .value_kind:     hidden_remainder_z
      - .offset:         176
        .size:           8
        .value_kind:     hidden_global_offset_x
      - .offset:         184
        .size:           8
        .value_kind:     hidden_global_offset_y
      - .offset:         192
        .size:           8
        .value_kind:     hidden_global_offset_z
      - .offset:         200
        .size:           2
        .value_kind:     hidden_grid_dims
    .group_segment_fixed_size: 0
    .kernarg_segment_align: 8
    .kernarg_segment_size: 392
    .language:       OpenCL C
    .language_version:
      - 2
      - 0
    .max_flat_workgroup_size: 1024
    .name:           _ZL10cpy_scalarIXadL_ZL12cpy_1_scalarI6__halfS1_EvPKcPcEEEvS3_S4_lllllllllllllll
    .private_segment_fixed_size: 0
    .sgpr_count:     54
    .sgpr_spill_count: 0
    .symbol:         _ZL10cpy_scalarIXadL_ZL12cpy_1_scalarI6__halfS1_EvPKcPcEEEvS3_S4_lllllllllllllll.kd
    .uniform_work_group_size: 1
    .uses_dynamic_stack: false
    .vgpr_count:     25
    .vgpr_spill_count: 0
    .wavefront_size: 32
    .workgroup_processor_mode: 1
  - .args:
      - .address_space:  global
        .offset:         0
        .size:           8
        .value_kind:     global_buffer
      - .address_space:  global
        .offset:         8
        .size:           8
        .value_kind:     global_buffer
      - .offset:         16
        .size:           8
        .value_kind:     by_value
      - .offset:         24
        .size:           4
        .value_kind:     hidden_block_count_x
      - .offset:         28
        .size:           4
        .value_kind:     hidden_block_count_y
      - .offset:         32
        .size:           4
        .value_kind:     hidden_block_count_z
      - .offset:         36
        .size:           2
        .value_kind:     hidden_group_size_x
      - .offset:         38
        .size:           2
        .value_kind:     hidden_group_size_y
      - .offset:         40
        .size:           2
        .value_kind:     hidden_group_size_z
      - .offset:         42
        .size:           2
        .value_kind:     hidden_remainder_x
      - .offset:         44
        .size:           2
        .value_kind:     hidden_remainder_y
      - .offset:         46
        .size:           2
        .value_kind:     hidden_remainder_z
      - .offset:         64
        .size:           8
        .value_kind:     hidden_global_offset_x
      - .offset:         72
        .size:           8
        .value_kind:     hidden_global_offset_y
      - .offset:         80
        .size:           8
        .value_kind:     hidden_global_offset_z
      - .offset:         88
        .size:           2
        .value_kind:     hidden_grid_dims
    .group_segment_fixed_size: 0
    .kernarg_segment_align: 8
    .kernarg_segment_size: 280
    .language:       OpenCL C
    .language_version:
      - 2
      - 0
    .max_flat_workgroup_size: 1024
    .name:           _ZL21cpy_scalar_contiguousI6__half14__hip_bfloat16EvPKcPcl
    .private_segment_fixed_size: 0
    .sgpr_count:     18
    .sgpr_spill_count: 0
    .symbol:         _ZL21cpy_scalar_contiguousI6__half14__hip_bfloat16EvPKcPcl.kd
    .uniform_work_group_size: 1
    .uses_dynamic_stack: false
    .vgpr_count:     5
    .vgpr_spill_count: 0
    .wavefront_size: 32
    .workgroup_processor_mode: 1
  - .args:
      - .address_space:  global
        .offset:         0
        .size:           8
        .value_kind:     global_buffer
      - .address_space:  global
        .offset:         8
        .size:           8
        .value_kind:     global_buffer
      - .offset:         16
        .size:           8
        .value_kind:     by_value
      - .offset:         24
        .size:           8
        .value_kind:     by_value
      - .offset:         32
        .size:           8
        .value_kind:     by_value
      - .offset:         40
        .size:           8
        .value_kind:     by_value
      - .offset:         48
        .size:           8
        .value_kind:     by_value
      - .offset:         56
        .size:           8
        .value_kind:     by_value
      - .offset:         64
        .size:           8
        .value_kind:     by_value
      - .offset:         72
        .size:           8
        .value_kind:     by_value
      - .offset:         80
        .size:           8
        .value_kind:     by_value
      - .offset:         88
        .size:           8
        .value_kind:     by_value
      - .offset:         96
        .size:           8
        .value_kind:     by_value
      - .offset:         104
        .size:           8
        .value_kind:     by_value
      - .offset:         112
        .size:           8
        .value_kind:     by_value
      - .offset:         120
        .size:           8
        .value_kind:     by_value
      - .offset:         128
        .size:           8
        .value_kind:     by_value
      - .offset:         136
        .size:           4
        .value_kind:     hidden_block_count_x
      - .offset:         140
        .size:           4
        .value_kind:     hidden_block_count_y
      - .offset:         144
        .size:           4
        .value_kind:     hidden_block_count_z
      - .offset:         148
        .size:           2
        .value_kind:     hidden_group_size_x
      - .offset:         150
        .size:           2
        .value_kind:     hidden_group_size_y
      - .offset:         152
        .size:           2
        .value_kind:     hidden_group_size_z
      - .offset:         154
        .size:           2
        .value_kind:     hidden_remainder_x
      - .offset:         156
        .size:           2
        .value_kind:     hidden_remainder_y
      - .offset:         158
        .size:           2
        .value_kind:     hidden_remainder_z
      - .offset:         176
        .size:           8
        .value_kind:     hidden_global_offset_x
      - .offset:         184
        .size:           8
        .value_kind:     hidden_global_offset_y
      - .offset:         192
        .size:           8
        .value_kind:     hidden_global_offset_z
      - .offset:         200
        .size:           2
        .value_kind:     hidden_grid_dims
    .group_segment_fixed_size: 0
    .kernarg_segment_align: 8
    .kernarg_segment_size: 392
    .language:       OpenCL C
    .language_version:
      - 2
      - 0
    .max_flat_workgroup_size: 1024
    .name:           _ZL10cpy_scalarIXadL_ZL12cpy_1_scalarI6__half14__hip_bfloat16EvPKcPcEEEvS4_S5_lllllllllllllll
    .private_segment_fixed_size: 0
    .sgpr_count:     54
    .sgpr_spill_count: 0
    .symbol:         _ZL10cpy_scalarIXadL_ZL12cpy_1_scalarI6__half14__hip_bfloat16EvPKcPcEEEvS4_S5_lllllllllllllll.kd
    .uniform_work_group_size: 1
    .uses_dynamic_stack: false
    .vgpr_count:     25
    .vgpr_spill_count: 0
    .wavefront_size: 32
    .workgroup_processor_mode: 1
  - .args:
      - .address_space:  global
        .offset:         0
        .size:           8
        .value_kind:     global_buffer
      - .address_space:  global
        .offset:         8
        .size:           8
        .value_kind:     global_buffer
      - .offset:         16
        .size:           8
        .value_kind:     by_value
      - .offset:         24
        .size:           4
        .value_kind:     hidden_block_count_x
      - .offset:         28
        .size:           4
        .value_kind:     hidden_block_count_y
      - .offset:         32
        .size:           4
        .value_kind:     hidden_block_count_z
      - .offset:         36
        .size:           2
        .value_kind:     hidden_group_size_x
      - .offset:         38
        .size:           2
        .value_kind:     hidden_group_size_y
      - .offset:         40
        .size:           2
        .value_kind:     hidden_group_size_z
      - .offset:         42
        .size:           2
        .value_kind:     hidden_remainder_x
      - .offset:         44
        .size:           2
        .value_kind:     hidden_remainder_y
      - .offset:         46
        .size:           2
        .value_kind:     hidden_remainder_z
      - .offset:         64
        .size:           8
        .value_kind:     hidden_global_offset_x
      - .offset:         72
        .size:           8
        .value_kind:     hidden_global_offset_y
      - .offset:         80
        .size:           8
        .value_kind:     hidden_global_offset_z
      - .offset:         88
        .size:           2
        .value_kind:     hidden_grid_dims
    .group_segment_fixed_size: 0
    .kernarg_segment_align: 8
    .kernarg_segment_size: 280
    .language:       OpenCL C
    .language_version:
      - 2
      - 0
    .max_flat_workgroup_size: 1024
    .name:           _ZL21cpy_scalar_contiguousI6__halffEvPKcPcl
    .private_segment_fixed_size: 0
    .sgpr_count:     18
    .sgpr_spill_count: 0
    .symbol:         _ZL21cpy_scalar_contiguousI6__halffEvPKcPcl.kd
    .uniform_work_group_size: 1
    .uses_dynamic_stack: false
    .vgpr_count:     5
    .vgpr_spill_count: 0
    .wavefront_size: 32
    .workgroup_processor_mode: 1
  - .args:
      - .address_space:  global
        .offset:         0
        .size:           8
        .value_kind:     global_buffer
      - .address_space:  global
        .offset:         8
        .size:           8
        .value_kind:     global_buffer
      - .offset:         16
        .size:           8
        .value_kind:     by_value
      - .offset:         24
        .size:           8
        .value_kind:     by_value
      - .offset:         32
        .size:           8
        .value_kind:     by_value
      - .offset:         40
        .size:           8
        .value_kind:     by_value
      - .offset:         48
        .size:           8
        .value_kind:     by_value
      - .offset:         56
        .size:           8
        .value_kind:     by_value
      - .offset:         64
        .size:           8
        .value_kind:     by_value
      - .offset:         72
        .size:           8
        .value_kind:     by_value
      - .offset:         80
        .size:           8
        .value_kind:     by_value
      - .offset:         88
        .size:           8
        .value_kind:     by_value
      - .offset:         96
        .size:           8
        .value_kind:     by_value
      - .offset:         104
        .size:           8
        .value_kind:     by_value
      - .offset:         112
        .size:           8
        .value_kind:     by_value
      - .offset:         120
        .size:           8
        .value_kind:     by_value
      - .offset:         128
        .size:           8
        .value_kind:     by_value
      - .offset:         136
        .size:           4
        .value_kind:     hidden_block_count_x
      - .offset:         140
        .size:           4
        .value_kind:     hidden_block_count_y
      - .offset:         144
        .size:           4
        .value_kind:     hidden_block_count_z
      - .offset:         148
        .size:           2
        .value_kind:     hidden_group_size_x
      - .offset:         150
        .size:           2
        .value_kind:     hidden_group_size_y
      - .offset:         152
        .size:           2
        .value_kind:     hidden_group_size_z
      - .offset:         154
        .size:           2
        .value_kind:     hidden_remainder_x
      - .offset:         156
        .size:           2
        .value_kind:     hidden_remainder_y
      - .offset:         158
        .size:           2
        .value_kind:     hidden_remainder_z
      - .offset:         176
        .size:           8
        .value_kind:     hidden_global_offset_x
      - .offset:         184
        .size:           8
        .value_kind:     hidden_global_offset_y
      - .offset:         192
        .size:           8
        .value_kind:     hidden_global_offset_z
      - .offset:         200
        .size:           2
        .value_kind:     hidden_grid_dims
    .group_segment_fixed_size: 0
    .kernarg_segment_align: 8
    .kernarg_segment_size: 392
    .language:       OpenCL C
    .language_version:
      - 2
      - 0
    .max_flat_workgroup_size: 1024
    .name:           _ZL10cpy_scalarIXadL_ZL12cpy_1_scalarI6__halffEvPKcPcEEEvS3_S4_lllllllllllllll
    .private_segment_fixed_size: 0
    .sgpr_count:     54
    .sgpr_spill_count: 0
    .symbol:         _ZL10cpy_scalarIXadL_ZL12cpy_1_scalarI6__halffEvPKcPcEEEvS3_S4_lllllllllllllll.kd
    .uniform_work_group_size: 1
    .uses_dynamic_stack: false
    .vgpr_count:     25
    .vgpr_spill_count: 0
    .wavefront_size: 32
    .workgroup_processor_mode: 1
  - .args:
      - .address_space:  global
        .offset:         0
        .size:           8
        .value_kind:     global_buffer
      - .address_space:  global
        .offset:         8
        .size:           8
        .value_kind:     global_buffer
      - .offset:         16
        .size:           8
        .value_kind:     by_value
      - .offset:         24
        .size:           8
        .value_kind:     by_value
      - .offset:         32
        .size:           8
        .value_kind:     by_value
      - .offset:         40
        .size:           8
        .value_kind:     by_value
      - .offset:         48
        .size:           8
        .value_kind:     by_value
      - .offset:         56
        .size:           8
        .value_kind:     by_value
      - .offset:         64
        .size:           8
        .value_kind:     by_value
      - .offset:         72
        .size:           8
        .value_kind:     by_value
      - .offset:         80
        .size:           8
        .value_kind:     by_value
      - .offset:         88
        .size:           8
        .value_kind:     by_value
      - .offset:         96
        .size:           8
        .value_kind:     by_value
      - .offset:         104
        .size:           8
        .value_kind:     by_value
      - .offset:         112
        .size:           8
        .value_kind:     by_value
      - .offset:         120
        .size:           8
        .value_kind:     by_value
      - .offset:         128
        .size:           8
        .value_kind:     by_value
      - .offset:         136
        .size:           4
        .value_kind:     hidden_block_count_x
      - .offset:         140
        .size:           4
        .value_kind:     hidden_block_count_y
      - .offset:         144
        .size:           4
        .value_kind:     hidden_block_count_z
      - .offset:         148
        .size:           2
        .value_kind:     hidden_group_size_x
      - .offset:         150
        .size:           2
        .value_kind:     hidden_group_size_y
      - .offset:         152
        .size:           2
        .value_kind:     hidden_group_size_z
      - .offset:         154
        .size:           2
        .value_kind:     hidden_remainder_x
      - .offset:         156
        .size:           2
        .value_kind:     hidden_remainder_y
      - .offset:         158
        .size:           2
        .value_kind:     hidden_remainder_z
      - .offset:         176
        .size:           8
        .value_kind:     hidden_global_offset_x
      - .offset:         184
        .size:           8
        .value_kind:     hidden_global_offset_y
      - .offset:         192
        .size:           8
        .value_kind:     hidden_global_offset_z
      - .offset:         200
        .size:           2
        .value_kind:     hidden_grid_dims
    .group_segment_fixed_size: 0
    .kernarg_segment_align: 8
    .kernarg_segment_size: 392
    .language:       OpenCL C
    .language_version:
      - 2
      - 0
    .max_flat_workgroup_size: 1024
    .name:           _ZL10cpy_scalarIXadL_ZL12cpy_1_scalarI14__hip_bfloat16S1_EvPKcPcEEEvS3_S4_lllllllllllllll
    .private_segment_fixed_size: 0
    .sgpr_count:     54
    .sgpr_spill_count: 0
    .symbol:         _ZL10cpy_scalarIXadL_ZL12cpy_1_scalarI14__hip_bfloat16S1_EvPKcPcEEEvS3_S4_lllllllllllllll.kd
    .uniform_work_group_size: 1
    .uses_dynamic_stack: false
    .vgpr_count:     25
    .vgpr_spill_count: 0
    .wavefront_size: 32
    .workgroup_processor_mode: 1
  - .args:
      - .address_space:  global
        .offset:         0
        .size:           8
        .value_kind:     global_buffer
      - .address_space:  global
        .offset:         8
        .size:           8
        .value_kind:     global_buffer
      - .offset:         16
        .size:           8
        .value_kind:     by_value
      - .offset:         24
        .size:           4
        .value_kind:     hidden_block_count_x
      - .offset:         28
        .size:           4
        .value_kind:     hidden_block_count_y
      - .offset:         32
        .size:           4
        .value_kind:     hidden_block_count_z
      - .offset:         36
        .size:           2
        .value_kind:     hidden_group_size_x
      - .offset:         38
        .size:           2
        .value_kind:     hidden_group_size_y
      - .offset:         40
        .size:           2
        .value_kind:     hidden_group_size_z
      - .offset:         42
        .size:           2
        .value_kind:     hidden_remainder_x
      - .offset:         44
        .size:           2
        .value_kind:     hidden_remainder_y
      - .offset:         46
        .size:           2
        .value_kind:     hidden_remainder_z
      - .offset:         64
        .size:           8
        .value_kind:     hidden_global_offset_x
      - .offset:         72
        .size:           8
        .value_kind:     hidden_global_offset_y
      - .offset:         80
        .size:           8
        .value_kind:     hidden_global_offset_z
      - .offset:         88
        .size:           2
        .value_kind:     hidden_grid_dims
    .group_segment_fixed_size: 0
    .kernarg_segment_align: 8
    .kernarg_segment_size: 280
    .language:       OpenCL C
    .language_version:
      - 2
      - 0
    .max_flat_workgroup_size: 1024
    .name:           _ZL21cpy_scalar_contiguousI14__hip_bfloat166__halfEvPKcPcl
    .private_segment_fixed_size: 0
    .sgpr_count:     18
    .sgpr_spill_count: 0
    .symbol:         _ZL21cpy_scalar_contiguousI14__hip_bfloat166__halfEvPKcPcl.kd
    .uniform_work_group_size: 1
    .uses_dynamic_stack: false
    .vgpr_count:     4
    .vgpr_spill_count: 0
    .wavefront_size: 32
    .workgroup_processor_mode: 1
  - .args:
      - .address_space:  global
        .offset:         0
        .size:           8
        .value_kind:     global_buffer
      - .address_space:  global
        .offset:         8
        .size:           8
        .value_kind:     global_buffer
      - .offset:         16
        .size:           8
        .value_kind:     by_value
      - .offset:         24
        .size:           8
        .value_kind:     by_value
      - .offset:         32
        .size:           8
        .value_kind:     by_value
      - .offset:         40
        .size:           8
        .value_kind:     by_value
      - .offset:         48
        .size:           8
        .value_kind:     by_value
      - .offset:         56
        .size:           8
        .value_kind:     by_value
      - .offset:         64
        .size:           8
        .value_kind:     by_value
      - .offset:         72
        .size:           8
        .value_kind:     by_value
      - .offset:         80
        .size:           8
        .value_kind:     by_value
      - .offset:         88
        .size:           8
        .value_kind:     by_value
      - .offset:         96
        .size:           8
        .value_kind:     by_value
      - .offset:         104
        .size:           8
        .value_kind:     by_value
      - .offset:         112
        .size:           8
        .value_kind:     by_value
      - .offset:         120
        .size:           8
        .value_kind:     by_value
      - .offset:         128
        .size:           8
        .value_kind:     by_value
      - .offset:         136
        .size:           4
        .value_kind:     hidden_block_count_x
      - .offset:         140
        .size:           4
        .value_kind:     hidden_block_count_y
      - .offset:         144
        .size:           4
        .value_kind:     hidden_block_count_z
      - .offset:         148
        .size:           2
        .value_kind:     hidden_group_size_x
      - .offset:         150
        .size:           2
        .value_kind:     hidden_group_size_y
      - .offset:         152
        .size:           2
        .value_kind:     hidden_group_size_z
      - .offset:         154
        .size:           2
        .value_kind:     hidden_remainder_x
      - .offset:         156
        .size:           2
        .value_kind:     hidden_remainder_y
      - .offset:         158
        .size:           2
        .value_kind:     hidden_remainder_z
      - .offset:         176
        .size:           8
        .value_kind:     hidden_global_offset_x
      - .offset:         184
        .size:           8
        .value_kind:     hidden_global_offset_y
      - .offset:         192
        .size:           8
        .value_kind:     hidden_global_offset_z
      - .offset:         200
        .size:           2
        .value_kind:     hidden_grid_dims
    .group_segment_fixed_size: 0
    .kernarg_segment_align: 8
    .kernarg_segment_size: 392
    .language:       OpenCL C
    .language_version:
      - 2
      - 0
    .max_flat_workgroup_size: 1024
    .name:           _ZL10cpy_scalarIXadL_ZL12cpy_1_scalarI14__hip_bfloat166__halfEvPKcPcEEEvS4_S5_lllllllllllllll
    .private_segment_fixed_size: 0
    .sgpr_count:     54
    .sgpr_spill_count: 0
    .symbol:         _ZL10cpy_scalarIXadL_ZL12cpy_1_scalarI14__hip_bfloat166__halfEvPKcPcEEEvS4_S5_lllllllllllllll.kd
    .uniform_work_group_size: 1
    .uses_dynamic_stack: false
    .vgpr_count:     25
    .vgpr_spill_count: 0
    .wavefront_size: 32
    .workgroup_processor_mode: 1
  - .args:
      - .address_space:  global
        .offset:         0
        .size:           8
        .value_kind:     global_buffer
      - .address_space:  global
        .offset:         8
        .size:           8
        .value_kind:     global_buffer
      - .offset:         16
        .size:           8
        .value_kind:     by_value
      - .offset:         24
        .size:           4
        .value_kind:     hidden_block_count_x
      - .offset:         28
        .size:           4
        .value_kind:     hidden_block_count_y
      - .offset:         32
        .size:           4
        .value_kind:     hidden_block_count_z
      - .offset:         36
        .size:           2
        .value_kind:     hidden_group_size_x
      - .offset:         38
        .size:           2
        .value_kind:     hidden_group_size_y
      - .offset:         40
        .size:           2
        .value_kind:     hidden_group_size_z
      - .offset:         42
        .size:           2
        .value_kind:     hidden_remainder_x
      - .offset:         44
        .size:           2
        .value_kind:     hidden_remainder_y
      - .offset:         46
        .size:           2
        .value_kind:     hidden_remainder_z
      - .offset:         64
        .size:           8
        .value_kind:     hidden_global_offset_x
      - .offset:         72
        .size:           8
        .value_kind:     hidden_global_offset_y
      - .offset:         80
        .size:           8
        .value_kind:     hidden_global_offset_z
      - .offset:         88
        .size:           2
        .value_kind:     hidden_grid_dims
    .group_segment_fixed_size: 0
    .kernarg_segment_align: 8
    .kernarg_segment_size: 280
    .language:       OpenCL C
    .language_version:
      - 2
      - 0
    .max_flat_workgroup_size: 1024
    .name:           _ZL21cpy_scalar_contiguousI14__hip_bfloat16fEvPKcPcl
    .private_segment_fixed_size: 0
    .sgpr_count:     18
    .sgpr_spill_count: 0
    .symbol:         _ZL21cpy_scalar_contiguousI14__hip_bfloat16fEvPKcPcl.kd
    .uniform_work_group_size: 1
    .uses_dynamic_stack: false
    .vgpr_count:     5
    .vgpr_spill_count: 0
    .wavefront_size: 32
    .workgroup_processor_mode: 1
  - .args:
      - .address_space:  global
        .offset:         0
        .size:           8
        .value_kind:     global_buffer
      - .address_space:  global
        .offset:         8
        .size:           8
        .value_kind:     global_buffer
      - .offset:         16
        .size:           8
        .value_kind:     by_value
      - .offset:         24
        .size:           8
        .value_kind:     by_value
      - .offset:         32
        .size:           8
        .value_kind:     by_value
      - .offset:         40
        .size:           8
        .value_kind:     by_value
      - .offset:         48
        .size:           8
        .value_kind:     by_value
      - .offset:         56
        .size:           8
        .value_kind:     by_value
      - .offset:         64
        .size:           8
        .value_kind:     by_value
      - .offset:         72
        .size:           8
        .value_kind:     by_value
      - .offset:         80
        .size:           8
        .value_kind:     by_value
      - .offset:         88
        .size:           8
        .value_kind:     by_value
      - .offset:         96
        .size:           8
        .value_kind:     by_value
      - .offset:         104
        .size:           8
        .value_kind:     by_value
      - .offset:         112
        .size:           8
        .value_kind:     by_value
      - .offset:         120
        .size:           8
        .value_kind:     by_value
      - .offset:         128
        .size:           8
        .value_kind:     by_value
      - .offset:         136
        .size:           4
        .value_kind:     hidden_block_count_x
      - .offset:         140
        .size:           4
        .value_kind:     hidden_block_count_y
      - .offset:         144
        .size:           4
        .value_kind:     hidden_block_count_z
      - .offset:         148
        .size:           2
        .value_kind:     hidden_group_size_x
      - .offset:         150
        .size:           2
        .value_kind:     hidden_group_size_y
      - .offset:         152
        .size:           2
        .value_kind:     hidden_group_size_z
      - .offset:         154
        .size:           2
        .value_kind:     hidden_remainder_x
      - .offset:         156
        .size:           2
        .value_kind:     hidden_remainder_y
      - .offset:         158
        .size:           2
        .value_kind:     hidden_remainder_z
      - .offset:         176
        .size:           8
        .value_kind:     hidden_global_offset_x
      - .offset:         184
        .size:           8
        .value_kind:     hidden_global_offset_y
      - .offset:         192
        .size:           8
        .value_kind:     hidden_global_offset_z
      - .offset:         200
        .size:           2
        .value_kind:     hidden_grid_dims
    .group_segment_fixed_size: 0
    .kernarg_segment_align: 8
    .kernarg_segment_size: 392
    .language:       OpenCL C
    .language_version:
      - 2
      - 0
    .max_flat_workgroup_size: 1024
    .name:           _ZL10cpy_scalarIXadL_ZL12cpy_1_scalarI14__hip_bfloat16fEvPKcPcEEEvS3_S4_lllllllllllllll
    .private_segment_fixed_size: 0
    .sgpr_count:     54
    .sgpr_spill_count: 0
    .symbol:         _ZL10cpy_scalarIXadL_ZL12cpy_1_scalarI14__hip_bfloat16fEvPKcPcEEEvS3_S4_lllllllllllllll.kd
    .uniform_work_group_size: 1
    .uses_dynamic_stack: false
    .vgpr_count:     25
    .vgpr_spill_count: 0
    .wavefront_size: 32
    .workgroup_processor_mode: 1
  - .args:
      - .address_space:  global
        .offset:         0
        .size:           8
        .value_kind:     global_buffer
      - .address_space:  global
        .offset:         8
        .size:           8
        .value_kind:     global_buffer
      - .offset:         16
        .size:           8
        .value_kind:     by_value
      - .offset:         24
        .size:           8
        .value_kind:     by_value
      - .offset:         32
        .size:           8
        .value_kind:     by_value
      - .offset:         40
        .size:           8
        .value_kind:     by_value
      - .offset:         48
        .size:           8
        .value_kind:     by_value
      - .offset:         56
        .size:           8
        .value_kind:     by_value
      - .offset:         64
        .size:           8
        .value_kind:     by_value
      - .offset:         72
        .size:           8
        .value_kind:     by_value
      - .offset:         80
        .size:           8
        .value_kind:     by_value
      - .offset:         88
        .size:           8
        .value_kind:     by_value
      - .offset:         96
        .size:           8
        .value_kind:     by_value
      - .offset:         104
        .size:           8
        .value_kind:     by_value
      - .offset:         112
        .size:           8
        .value_kind:     by_value
      - .offset:         120
        .size:           8
        .value_kind:     by_value
      - .offset:         128
        .size:           8
        .value_kind:     by_value
    .group_segment_fixed_size: 8448
    .kernarg_segment_align: 8
    .kernarg_segment_size: 136
    .language:       OpenCL C
    .language_version:
      - 2
      - 0
    .max_flat_workgroup_size: 1024
    .name:           _ZL20cpy_scalar_transposeIiEvPKcPclllllllllllllll
    .private_segment_fixed_size: 0
    .sgpr_count:     32
    .sgpr_spill_count: 0
    .symbol:         _ZL20cpy_scalar_transposeIiEvPKcPclllllllllllllll.kd
    .uniform_work_group_size: 1
    .uses_dynamic_stack: false
    .vgpr_count:     21
    .vgpr_spill_count: 0
    .wavefront_size: 32
    .workgroup_processor_mode: 1
  - .args:
      - .address_space:  global
        .offset:         0
        .size:           8
        .value_kind:     global_buffer
      - .address_space:  global
        .offset:         8
        .size:           8
        .value_kind:     global_buffer
      - .offset:         16
        .size:           8
        .value_kind:     by_value
      - .offset:         24
        .size:           8
        .value_kind:     by_value
      - .offset:         32
        .size:           8
        .value_kind:     by_value
      - .offset:         40
        .size:           8
        .value_kind:     by_value
      - .offset:         48
        .size:           8
        .value_kind:     by_value
      - .offset:         56
        .size:           8
        .value_kind:     by_value
      - .offset:         64
        .size:           8
        .value_kind:     by_value
      - .offset:         72
        .size:           8
        .value_kind:     by_value
      - .offset:         80
        .size:           8
        .value_kind:     by_value
      - .offset:         88
        .size:           8
        .value_kind:     by_value
      - .offset:         96
        .size:           8
        .value_kind:     by_value
      - .offset:         104
        .size:           8
        .value_kind:     by_value
      - .offset:         112
        .size:           8
        .value_kind:     by_value
      - .offset:         120
        .size:           8
        .value_kind:     by_value
      - .offset:         128
        .size:           8
        .value_kind:     by_value
      - .offset:         136
        .size:           4
        .value_kind:     hidden_block_count_x
      - .offset:         140
        .size:           4
        .value_kind:     hidden_block_count_y
      - .offset:         144
        .size:           4
        .value_kind:     hidden_block_count_z
      - .offset:         148
        .size:           2
        .value_kind:     hidden_group_size_x
      - .offset:         150
        .size:           2
        .value_kind:     hidden_group_size_y
      - .offset:         152
        .size:           2
        .value_kind:     hidden_group_size_z
      - .offset:         154
        .size:           2
        .value_kind:     hidden_remainder_x
      - .offset:         156
        .size:           2
        .value_kind:     hidden_remainder_y
      - .offset:         158
        .size:           2
        .value_kind:     hidden_remainder_z
      - .offset:         176
        .size:           8
        .value_kind:     hidden_global_offset_x
      - .offset:         184
        .size:           8
        .value_kind:     hidden_global_offset_y
      - .offset:         192
        .size:           8
        .value_kind:     hidden_global_offset_z
      - .offset:         200
        .size:           2
        .value_kind:     hidden_grid_dims
    .group_segment_fixed_size: 0
    .kernarg_segment_align: 8
    .kernarg_segment_size: 392
    .language:       OpenCL C
    .language_version:
      - 2
      - 0
    .max_flat_workgroup_size: 1024
    .name:           _ZL10cpy_scalarIXadL_ZL12cpy_1_scalarIiiEvPKcPcEEEvS2_S3_lllllllllllllll
    .private_segment_fixed_size: 0
    .sgpr_count:     54
    .sgpr_spill_count: 0
    .symbol:         _ZL10cpy_scalarIXadL_ZL12cpy_1_scalarIiiEvPKcPcEEEvS2_S3_lllllllllllllll.kd
    .uniform_work_group_size: 1
    .uses_dynamic_stack: false
    .vgpr_count:     25
    .vgpr_spill_count: 0
    .wavefront_size: 32
    .workgroup_processor_mode: 1
  - .args:
      - .address_space:  global
        .offset:         0
        .size:           8
        .value_kind:     global_buffer
      - .address_space:  global
        .offset:         8
        .size:           8
        .value_kind:     global_buffer
      - .offset:         16
        .size:           8
        .value_kind:     by_value
      - .offset:         24
        .size:           4
        .value_kind:     hidden_block_count_x
      - .offset:         28
        .size:           4
        .value_kind:     hidden_block_count_y
      - .offset:         32
        .size:           4
        .value_kind:     hidden_block_count_z
      - .offset:         36
        .size:           2
        .value_kind:     hidden_group_size_x
      - .offset:         38
        .size:           2
        .value_kind:     hidden_group_size_y
      - .offset:         40
        .size:           2
        .value_kind:     hidden_group_size_z
      - .offset:         42
        .size:           2
        .value_kind:     hidden_remainder_x
      - .offset:         44
        .size:           2
        .value_kind:     hidden_remainder_y
      - .offset:         46
        .size:           2
        .value_kind:     hidden_remainder_z
      - .offset:         64
        .size:           8
        .value_kind:     hidden_global_offset_x
      - .offset:         72
        .size:           8
        .value_kind:     hidden_global_offset_y
      - .offset:         80
        .size:           8
        .value_kind:     hidden_global_offset_z
      - .offset:         88
        .size:           2
        .value_kind:     hidden_grid_dims
    .group_segment_fixed_size: 0
    .kernarg_segment_align: 8
    .kernarg_segment_size: 280
    .language:       OpenCL C
    .language_version:
      - 2
      - 0
    .max_flat_workgroup_size: 1024
    .name:           _ZL21cpy_scalar_contiguousIfiEvPKcPcl
    .private_segment_fixed_size: 0
    .sgpr_count:     18
    .sgpr_spill_count: 0
    .symbol:         _ZL21cpy_scalar_contiguousIfiEvPKcPcl.kd
    .uniform_work_group_size: 1
    .uses_dynamic_stack: false
    .vgpr_count:     4
    .vgpr_spill_count: 0
    .wavefront_size: 32
    .workgroup_processor_mode: 1
  - .args:
      - .address_space:  global
        .offset:         0
        .size:           8
        .value_kind:     global_buffer
      - .address_space:  global
        .offset:         8
        .size:           8
        .value_kind:     global_buffer
      - .offset:         16
        .size:           8
        .value_kind:     by_value
      - .offset:         24
        .size:           8
        .value_kind:     by_value
      - .offset:         32
        .size:           8
        .value_kind:     by_value
      - .offset:         40
        .size:           8
        .value_kind:     by_value
      - .offset:         48
        .size:           8
        .value_kind:     by_value
      - .offset:         56
        .size:           8
        .value_kind:     by_value
      - .offset:         64
        .size:           8
        .value_kind:     by_value
      - .offset:         72
        .size:           8
        .value_kind:     by_value
      - .offset:         80
        .size:           8
        .value_kind:     by_value
      - .offset:         88
        .size:           8
        .value_kind:     by_value
      - .offset:         96
        .size:           8
        .value_kind:     by_value
      - .offset:         104
        .size:           8
        .value_kind:     by_value
      - .offset:         112
        .size:           8
        .value_kind:     by_value
      - .offset:         120
        .size:           8
        .value_kind:     by_value
      - .offset:         128
        .size:           8
        .value_kind:     by_value
      - .offset:         136
        .size:           4
        .value_kind:     hidden_block_count_x
      - .offset:         140
        .size:           4
        .value_kind:     hidden_block_count_y
      - .offset:         144
        .size:           4
        .value_kind:     hidden_block_count_z
      - .offset:         148
        .size:           2
        .value_kind:     hidden_group_size_x
      - .offset:         150
        .size:           2
        .value_kind:     hidden_group_size_y
      - .offset:         152
        .size:           2
        .value_kind:     hidden_group_size_z
      - .offset:         154
        .size:           2
        .value_kind:     hidden_remainder_x
      - .offset:         156
        .size:           2
        .value_kind:     hidden_remainder_y
      - .offset:         158
        .size:           2
        .value_kind:     hidden_remainder_z
      - .offset:         176
        .size:           8
        .value_kind:     hidden_global_offset_x
      - .offset:         184
        .size:           8
        .value_kind:     hidden_global_offset_y
      - .offset:         192
        .size:           8
        .value_kind:     hidden_global_offset_z
      - .offset:         200
        .size:           2
        .value_kind:     hidden_grid_dims
    .group_segment_fixed_size: 0
    .kernarg_segment_align: 8
    .kernarg_segment_size: 392
    .language:       OpenCL C
    .language_version:
      - 2
      - 0
    .max_flat_workgroup_size: 1024
    .name:           _ZL10cpy_scalarIXadL_ZL12cpy_1_scalarIfiEvPKcPcEEEvS2_S3_lllllllllllllll
    .private_segment_fixed_size: 0
    .sgpr_count:     54
    .sgpr_spill_count: 0
    .symbol:         _ZL10cpy_scalarIXadL_ZL12cpy_1_scalarIfiEvPKcPcEEEvS2_S3_lllllllllllllll.kd
    .uniform_work_group_size: 1
    .uses_dynamic_stack: false
    .vgpr_count:     25
    .vgpr_spill_count: 0
    .wavefront_size: 32
    .workgroup_processor_mode: 1
  - .args:
      - .address_space:  global
        .offset:         0
        .size:           8
        .value_kind:     global_buffer
      - .address_space:  global
        .offset:         8
        .size:           8
        .value_kind:     global_buffer
      - .offset:         16
        .size:           8
        .value_kind:     by_value
      - .offset:         24
        .size:           4
        .value_kind:     hidden_block_count_x
      - .offset:         28
        .size:           4
        .value_kind:     hidden_block_count_y
      - .offset:         32
        .size:           4
        .value_kind:     hidden_block_count_z
      - .offset:         36
        .size:           2
        .value_kind:     hidden_group_size_x
      - .offset:         38
        .size:           2
        .value_kind:     hidden_group_size_y
      - .offset:         40
        .size:           2
        .value_kind:     hidden_group_size_z
      - .offset:         42
        .size:           2
        .value_kind:     hidden_remainder_x
      - .offset:         44
        .size:           2
        .value_kind:     hidden_remainder_y
      - .offset:         46
        .size:           2
        .value_kind:     hidden_remainder_z
      - .offset:         64
        .size:           8
        .value_kind:     hidden_global_offset_x
      - .offset:         72
        .size:           8
        .value_kind:     hidden_global_offset_y
      - .offset:         80
        .size:           8
        .value_kind:     hidden_global_offset_z
      - .offset:         88
        .size:           2
        .value_kind:     hidden_grid_dims
    .group_segment_fixed_size: 0
    .kernarg_segment_align: 8
    .kernarg_segment_size: 280
    .language:       OpenCL C
    .language_version:
      - 2
      - 0
    .max_flat_workgroup_size: 1024
    .name:           _ZL21cpy_scalar_contiguousIifEvPKcPcl
    .private_segment_fixed_size: 0
    .sgpr_count:     18
    .sgpr_spill_count: 0
    .symbol:         _ZL21cpy_scalar_contiguousIifEvPKcPcl.kd
    .uniform_work_group_size: 1
    .uses_dynamic_stack: false
    .vgpr_count:     4
    .vgpr_spill_count: 0
    .wavefront_size: 32
    .workgroup_processor_mode: 1
  - .args:
      - .address_space:  global
        .offset:         0
        .size:           8
        .value_kind:     global_buffer
      - .address_space:  global
        .offset:         8
        .size:           8
        .value_kind:     global_buffer
      - .offset:         16
        .size:           8
        .value_kind:     by_value
      - .offset:         24
        .size:           8
        .value_kind:     by_value
      - .offset:         32
        .size:           8
        .value_kind:     by_value
      - .offset:         40
        .size:           8
        .value_kind:     by_value
      - .offset:         48
        .size:           8
        .value_kind:     by_value
      - .offset:         56
        .size:           8
        .value_kind:     by_value
      - .offset:         64
        .size:           8
        .value_kind:     by_value
      - .offset:         72
        .size:           8
        .value_kind:     by_value
      - .offset:         80
        .size:           8
        .value_kind:     by_value
      - .offset:         88
        .size:           8
        .value_kind:     by_value
      - .offset:         96
        .size:           8
        .value_kind:     by_value
      - .offset:         104
        .size:           8
        .value_kind:     by_value
      - .offset:         112
        .size:           8
        .value_kind:     by_value
      - .offset:         120
        .size:           8
        .value_kind:     by_value
      - .offset:         128
        .size:           8
        .value_kind:     by_value
      - .offset:         136
        .size:           4
        .value_kind:     hidden_block_count_x
      - .offset:         140
        .size:           4
        .value_kind:     hidden_block_count_y
      - .offset:         144
        .size:           4
        .value_kind:     hidden_block_count_z
      - .offset:         148
        .size:           2
        .value_kind:     hidden_group_size_x
      - .offset:         150
        .size:           2
        .value_kind:     hidden_group_size_y
      - .offset:         152
        .size:           2
        .value_kind:     hidden_group_size_z
      - .offset:         154
        .size:           2
        .value_kind:     hidden_remainder_x
      - .offset:         156
        .size:           2
        .value_kind:     hidden_remainder_y
      - .offset:         158
        .size:           2
        .value_kind:     hidden_remainder_z
      - .offset:         176
        .size:           8
        .value_kind:     hidden_global_offset_x
      - .offset:         184
        .size:           8
        .value_kind:     hidden_global_offset_y
      - .offset:         192
        .size:           8
        .value_kind:     hidden_global_offset_z
      - .offset:         200
        .size:           2
        .value_kind:     hidden_grid_dims
    .group_segment_fixed_size: 0
    .kernarg_segment_align: 8
    .kernarg_segment_size: 392
    .language:       OpenCL C
    .language_version:
      - 2
      - 0
    .max_flat_workgroup_size: 1024
    .name:           _ZL10cpy_scalarIXadL_ZL12cpy_1_scalarIifEvPKcPcEEEvS2_S3_lllllllllllllll
    .private_segment_fixed_size: 0
    .sgpr_count:     54
    .sgpr_spill_count: 0
    .symbol:         _ZL10cpy_scalarIXadL_ZL12cpy_1_scalarIifEvPKcPcEEEvS2_S3_lllllllllllllll.kd
    .uniform_work_group_size: 1
    .uses_dynamic_stack: false
    .vgpr_count:     25
    .vgpr_spill_count: 0
    .wavefront_size: 32
    .workgroup_processor_mode: 1
amdhsa.target:   amdgcn-amd-amdhsa--gfx1100
amdhsa.version:
  - 1
  - 2
...

	.end_amdgpu_metadata
